;; amdgpu-corpus repo=ROCm/hipCUB kind=compiled arch=gfx906 opt=O3
	.amdgcn_target "amdgcn-amd-amdhsa--gfx906"
	.amdhsa_code_object_version 6
	.section	.text._Z15sort_key_kernelILj512ELj2EhN10test_utils4lessEEvPT1_T2_,"axG",@progbits,_Z15sort_key_kernelILj512ELj2EhN10test_utils4lessEEvPT1_T2_,comdat
	.protected	_Z15sort_key_kernelILj512ELj2EhN10test_utils4lessEEvPT1_T2_ ; -- Begin function _Z15sort_key_kernelILj512ELj2EhN10test_utils4lessEEvPT1_T2_
	.globl	_Z15sort_key_kernelILj512ELj2EhN10test_utils4lessEEvPT1_T2_
	.p2align	8
	.type	_Z15sort_key_kernelILj512ELj2EhN10test_utils4lessEEvPT1_T2_,@function
_Z15sort_key_kernelILj512ELj2EhN10test_utils4lessEEvPT1_T2_: ; @_Z15sort_key_kernelILj512ELj2EhN10test_utils4lessEEvPT1_T2_
; %bb.0:
	s_load_dwordx2 s[0:1], s[4:5], 0x0
	s_lshl_b32 s2, s6, 10
	v_lshlrev_b32_e32 v2, 1, v0
	v_and_b32_e32 v5, 0x3fc, v2
	v_or_b32_e32 v3, 2, v5
	s_waitcnt lgkmcnt(0)
	s_add_u32 s0, s0, s2
	s_addc_u32 s1, s1, 0
	global_load_ushort v8, v2, s[0:1]
	v_add_u32_e32 v4, 4, v5
	v_and_b32_e32 v9, 2, v2
	v_sub_u32_e32 v0, v3, v5
	v_sub_u32_e32 v1, v4, v3
	v_sub_u32_e32 v6, v9, v1
	v_min_i32_e32 v7, v9, v0
	v_cmp_ge_i32_e32 vcc, v9, v1
	v_mov_b32_e32 v1, s1
	v_add_co_u32_e64 v0, s[0:1], s0, v2
	s_mov_b32 s2, 0xc0c0001
	v_addc_co_u32_e64 v1, s[0:1], 0, v1, s[0:1]
	v_cndmask_b32_e32 v6, 0, v6, vcc
	s_waitcnt vmcnt(0)
	s_barrier
	v_cmp_lt_i32_e32 vcc, v6, v7
	v_perm_b32 v10, 0, v8, s2
	v_cmp_lt_u16_sdwa s[0:1], v8, v8 src0_sel:BYTE_1 src1_sel:BYTE_0
	v_cndmask_b32_e64 v8, v8, v10, s[0:1]
	ds_write_b8 v2, v8
	v_lshrrev_b16_e32 v8, 8, v8
	ds_write_b8 v2, v8 offset:1
	v_add_u32_e32 v8, v3, v9
	s_waitcnt lgkmcnt(0)
	s_barrier
	s_and_saveexec_b64 s[0:1], vcc
	s_cbranch_execz .LBB0_4
; %bb.1:
	s_mov_b64 s[2:3], 0
.LBB0_2:                                ; =>This Inner Loop Header: Depth=1
	v_sub_u32_e32 v9, v7, v6
	v_lshrrev_b32_e32 v9, 1, v9
	v_add_u32_e32 v9, v9, v6
	v_add_u32_e32 v10, v5, v9
	v_xad_u32 v11, v9, -1, v8
	ds_read_u8 v10, v10
	ds_read_u8 v11, v11
	v_add_u32_e32 v12, 1, v9
	s_waitcnt lgkmcnt(0)
	v_cmp_lt_u16_e32 vcc, v11, v10
	v_cndmask_b32_e32 v7, v7, v9, vcc
	v_cndmask_b32_e32 v6, v12, v6, vcc
	v_cmp_ge_i32_e32 vcc, v6, v7
	s_or_b64 s[2:3], vcc, s[2:3]
	s_andn2_b64 exec, exec, s[2:3]
	s_cbranch_execnz .LBB0_2
; %bb.3:
	s_or_b64 exec, exec, s[2:3]
.LBB0_4:
	s_or_b64 exec, exec, s[0:1]
	v_add_u32_e32 v5, v6, v5
	v_sub_u32_e32 v6, v8, v6
	ds_read_u8 v7, v5
	ds_read_u8 v8, v6
	v_cmp_le_i32_e64 s[0:1], v3, v5
	v_cmp_gt_i32_e32 vcc, v4, v6
                                        ; implicit-def: $vgpr9
	s_waitcnt lgkmcnt(0)
	v_cmp_lt_u16_sdwa s[2:3], v8, v7 src0_sel:BYTE_0 src1_sel:BYTE_0
	s_or_b64 s[0:1], s[0:1], s[2:3]
	s_and_b64 vcc, vcc, s[0:1]
	s_xor_b64 s[0:1], vcc, -1
	s_and_saveexec_b64 s[2:3], s[0:1]
	s_xor_b64 s[0:1], exec, s[2:3]
; %bb.5:
	ds_read_u8 v9, v5 offset:1
; %bb.6:
	s_or_saveexec_b64 s[0:1], s[0:1]
	v_mov_b32_e32 v10, v8
	s_xor_b64 exec, exec, s[0:1]
	s_cbranch_execz .LBB0_8
; %bb.7:
	ds_read_u8 v10, v6 offset:1
	s_waitcnt lgkmcnt(1)
	v_mov_b32_e32 v9, v7
.LBB0_8:
	s_or_b64 exec, exec, s[0:1]
	v_add_u32_e32 v11, 1, v5
	v_cndmask_b32_e32 v7, v7, v8, vcc
	v_add_u32_e32 v8, 1, v6
	v_cndmask_b32_e32 v5, v11, v5, vcc
	v_cndmask_b32_e32 v6, v6, v8, vcc
	v_cmp_ge_i32_e64 s[0:1], v5, v3
	s_waitcnt lgkmcnt(0)
	v_cmp_lt_u16_sdwa s[2:3], v10, v9 src0_sel:BYTE_0 src1_sel:BYTE_0
	v_cmp_lt_i32_e32 vcc, v6, v4
	s_or_b64 s[0:1], s[0:1], s[2:3]
	s_and_b64 vcc, vcc, s[0:1]
	v_cndmask_b32_e32 v3, v9, v10, vcc
	v_and_b32_e32 v5, 0x3f8, v2
	s_barrier
	ds_write_b8 v2, v7
	ds_write_b8 v2, v3 offset:1
	v_or_b32_e32 v3, 4, v5
	v_add_u32_e32 v4, 8, v5
	v_and_b32_e32 v7, 6, v2
	v_sub_u32_e32 v6, v4, v3
	v_sub_u32_e32 v8, v3, v5
	;; [unrolled: 1-line block ×3, first 2 shown]
	v_cmp_ge_i32_e32 vcc, v7, v6
	v_cndmask_b32_e32 v6, 0, v9, vcc
	v_min_i32_e32 v8, v7, v8
	v_cmp_lt_i32_e32 vcc, v6, v8
	v_add_u32_e32 v7, v3, v7
	s_waitcnt lgkmcnt(0)
	s_barrier
	s_and_saveexec_b64 s[0:1], vcc
	s_cbranch_execz .LBB0_12
; %bb.9:
	s_mov_b64 s[2:3], 0
.LBB0_10:                               ; =>This Inner Loop Header: Depth=1
	v_sub_u32_e32 v9, v8, v6
	v_lshrrev_b32_e32 v9, 1, v9
	v_add_u32_e32 v9, v9, v6
	v_add_u32_e32 v10, v5, v9
	v_xad_u32 v11, v9, -1, v7
	ds_read_u8 v10, v10
	ds_read_u8 v11, v11
	v_add_u32_e32 v12, 1, v9
	s_waitcnt lgkmcnt(0)
	v_cmp_lt_u16_e32 vcc, v11, v10
	v_cndmask_b32_e32 v8, v8, v9, vcc
	v_cndmask_b32_e32 v6, v12, v6, vcc
	v_cmp_ge_i32_e32 vcc, v6, v8
	s_or_b64 s[2:3], vcc, s[2:3]
	s_andn2_b64 exec, exec, s[2:3]
	s_cbranch_execnz .LBB0_10
; %bb.11:
	s_or_b64 exec, exec, s[2:3]
.LBB0_12:
	s_or_b64 exec, exec, s[0:1]
	v_add_u32_e32 v5, v6, v5
	v_sub_u32_e32 v6, v7, v6
	ds_read_u8 v7, v5
	ds_read_u8 v8, v6
	v_cmp_le_i32_e64 s[0:1], v3, v5
	v_cmp_gt_i32_e32 vcc, v4, v6
                                        ; implicit-def: $vgpr9
	s_waitcnt lgkmcnt(0)
	v_cmp_lt_u16_sdwa s[2:3], v8, v7 src0_sel:BYTE_0 src1_sel:BYTE_0
	s_or_b64 s[0:1], s[0:1], s[2:3]
	s_and_b64 vcc, vcc, s[0:1]
	s_xor_b64 s[0:1], vcc, -1
	s_and_saveexec_b64 s[2:3], s[0:1]
	s_xor_b64 s[0:1], exec, s[2:3]
; %bb.13:
	ds_read_u8 v9, v5 offset:1
; %bb.14:
	s_or_saveexec_b64 s[0:1], s[0:1]
	v_mov_b32_e32 v10, v8
	s_xor_b64 exec, exec, s[0:1]
	s_cbranch_execz .LBB0_16
; %bb.15:
	ds_read_u8 v10, v6 offset:1
	s_waitcnt lgkmcnt(1)
	v_mov_b32_e32 v9, v7
.LBB0_16:
	s_or_b64 exec, exec, s[0:1]
	v_add_u32_e32 v11, 1, v5
	v_cndmask_b32_e32 v7, v7, v8, vcc
	v_add_u32_e32 v8, 1, v6
	v_cndmask_b32_e32 v5, v11, v5, vcc
	v_cndmask_b32_e32 v6, v6, v8, vcc
	v_cmp_ge_i32_e64 s[0:1], v5, v3
	s_waitcnt lgkmcnt(0)
	v_cmp_lt_u16_sdwa s[2:3], v10, v9 src0_sel:BYTE_0 src1_sel:BYTE_0
	v_cmp_lt_i32_e32 vcc, v6, v4
	s_or_b64 s[0:1], s[0:1], s[2:3]
	s_and_b64 vcc, vcc, s[0:1]
	v_cndmask_b32_e32 v3, v9, v10, vcc
	v_and_b32_e32 v5, 0x3f0, v2
	s_barrier
	ds_write_b8 v2, v7
	ds_write_b8 v2, v3 offset:1
	v_or_b32_e32 v3, 8, v5
	v_add_u32_e32 v4, 16, v5
	v_and_b32_e32 v7, 14, v2
	v_sub_u32_e32 v6, v4, v3
	v_sub_u32_e32 v8, v3, v5
	;; [unrolled: 1-line block ×3, first 2 shown]
	v_cmp_ge_i32_e32 vcc, v7, v6
	v_cndmask_b32_e32 v6, 0, v9, vcc
	v_min_i32_e32 v8, v7, v8
	v_cmp_lt_i32_e32 vcc, v6, v8
	v_add_u32_e32 v7, v3, v7
	s_waitcnt lgkmcnt(0)
	s_barrier
	s_and_saveexec_b64 s[0:1], vcc
	s_cbranch_execz .LBB0_20
; %bb.17:
	s_mov_b64 s[2:3], 0
.LBB0_18:                               ; =>This Inner Loop Header: Depth=1
	v_sub_u32_e32 v9, v8, v6
	v_lshrrev_b32_e32 v9, 1, v9
	v_add_u32_e32 v9, v9, v6
	v_add_u32_e32 v10, v5, v9
	v_xad_u32 v11, v9, -1, v7
	ds_read_u8 v10, v10
	ds_read_u8 v11, v11
	v_add_u32_e32 v12, 1, v9
	s_waitcnt lgkmcnt(0)
	v_cmp_lt_u16_e32 vcc, v11, v10
	v_cndmask_b32_e32 v8, v8, v9, vcc
	v_cndmask_b32_e32 v6, v12, v6, vcc
	v_cmp_ge_i32_e32 vcc, v6, v8
	s_or_b64 s[2:3], vcc, s[2:3]
	s_andn2_b64 exec, exec, s[2:3]
	s_cbranch_execnz .LBB0_18
; %bb.19:
	s_or_b64 exec, exec, s[2:3]
.LBB0_20:
	s_or_b64 exec, exec, s[0:1]
	v_add_u32_e32 v5, v6, v5
	v_sub_u32_e32 v6, v7, v6
	ds_read_u8 v7, v5
	ds_read_u8 v8, v6
	v_cmp_le_i32_e64 s[0:1], v3, v5
	v_cmp_gt_i32_e32 vcc, v4, v6
                                        ; implicit-def: $vgpr9
	s_waitcnt lgkmcnt(0)
	v_cmp_lt_u16_sdwa s[2:3], v8, v7 src0_sel:BYTE_0 src1_sel:BYTE_0
	s_or_b64 s[0:1], s[0:1], s[2:3]
	s_and_b64 vcc, vcc, s[0:1]
	s_xor_b64 s[0:1], vcc, -1
	s_and_saveexec_b64 s[2:3], s[0:1]
	s_xor_b64 s[0:1], exec, s[2:3]
; %bb.21:
	ds_read_u8 v9, v5 offset:1
; %bb.22:
	s_or_saveexec_b64 s[0:1], s[0:1]
	v_mov_b32_e32 v10, v8
	s_xor_b64 exec, exec, s[0:1]
	s_cbranch_execz .LBB0_24
; %bb.23:
	ds_read_u8 v10, v6 offset:1
	s_waitcnt lgkmcnt(1)
	v_mov_b32_e32 v9, v7
.LBB0_24:
	s_or_b64 exec, exec, s[0:1]
	v_add_u32_e32 v11, 1, v5
	v_cndmask_b32_e32 v7, v7, v8, vcc
	v_add_u32_e32 v8, 1, v6
	v_cndmask_b32_e32 v5, v11, v5, vcc
	v_cndmask_b32_e32 v6, v6, v8, vcc
	v_cmp_ge_i32_e64 s[0:1], v5, v3
	s_waitcnt lgkmcnt(0)
	v_cmp_lt_u16_sdwa s[2:3], v10, v9 src0_sel:BYTE_0 src1_sel:BYTE_0
	v_cmp_lt_i32_e32 vcc, v6, v4
	s_or_b64 s[0:1], s[0:1], s[2:3]
	s_and_b64 vcc, vcc, s[0:1]
	v_cndmask_b32_e32 v3, v9, v10, vcc
	v_and_b32_e32 v5, 0x3e0, v2
	s_barrier
	ds_write_b8 v2, v7
	ds_write_b8 v2, v3 offset:1
	v_or_b32_e32 v3, 16, v5
	v_add_u32_e32 v4, 32, v5
	v_and_b32_e32 v7, 30, v2
	v_sub_u32_e32 v6, v4, v3
	v_sub_u32_e32 v8, v3, v5
	;; [unrolled: 1-line block ×3, first 2 shown]
	v_cmp_ge_i32_e32 vcc, v7, v6
	v_cndmask_b32_e32 v6, 0, v9, vcc
	v_min_i32_e32 v8, v7, v8
	v_cmp_lt_i32_e32 vcc, v6, v8
	v_add_u32_e32 v7, v3, v7
	s_waitcnt lgkmcnt(0)
	s_barrier
	s_and_saveexec_b64 s[0:1], vcc
	s_cbranch_execz .LBB0_28
; %bb.25:
	s_mov_b64 s[2:3], 0
.LBB0_26:                               ; =>This Inner Loop Header: Depth=1
	v_sub_u32_e32 v9, v8, v6
	v_lshrrev_b32_e32 v9, 1, v9
	v_add_u32_e32 v9, v9, v6
	v_add_u32_e32 v10, v5, v9
	v_xad_u32 v11, v9, -1, v7
	ds_read_u8 v10, v10
	ds_read_u8 v11, v11
	v_add_u32_e32 v12, 1, v9
	s_waitcnt lgkmcnt(0)
	v_cmp_lt_u16_e32 vcc, v11, v10
	v_cndmask_b32_e32 v8, v8, v9, vcc
	v_cndmask_b32_e32 v6, v12, v6, vcc
	v_cmp_ge_i32_e32 vcc, v6, v8
	s_or_b64 s[2:3], vcc, s[2:3]
	s_andn2_b64 exec, exec, s[2:3]
	s_cbranch_execnz .LBB0_26
; %bb.27:
	s_or_b64 exec, exec, s[2:3]
.LBB0_28:
	s_or_b64 exec, exec, s[0:1]
	v_add_u32_e32 v5, v6, v5
	v_sub_u32_e32 v6, v7, v6
	ds_read_u8 v7, v5
	ds_read_u8 v8, v6
	v_cmp_le_i32_e64 s[0:1], v3, v5
	v_cmp_gt_i32_e32 vcc, v4, v6
                                        ; implicit-def: $vgpr9
	s_waitcnt lgkmcnt(0)
	v_cmp_lt_u16_sdwa s[2:3], v8, v7 src0_sel:BYTE_0 src1_sel:BYTE_0
	s_or_b64 s[0:1], s[0:1], s[2:3]
	s_and_b64 vcc, vcc, s[0:1]
	s_xor_b64 s[0:1], vcc, -1
	s_and_saveexec_b64 s[2:3], s[0:1]
	s_xor_b64 s[0:1], exec, s[2:3]
; %bb.29:
	ds_read_u8 v9, v5 offset:1
; %bb.30:
	s_or_saveexec_b64 s[0:1], s[0:1]
	v_mov_b32_e32 v10, v8
	s_xor_b64 exec, exec, s[0:1]
	s_cbranch_execz .LBB0_32
; %bb.31:
	ds_read_u8 v10, v6 offset:1
	s_waitcnt lgkmcnt(1)
	v_mov_b32_e32 v9, v7
.LBB0_32:
	s_or_b64 exec, exec, s[0:1]
	v_add_u32_e32 v11, 1, v5
	v_cndmask_b32_e32 v7, v7, v8, vcc
	v_add_u32_e32 v8, 1, v6
	v_cndmask_b32_e32 v5, v11, v5, vcc
	v_cndmask_b32_e32 v6, v6, v8, vcc
	v_cmp_ge_i32_e64 s[0:1], v5, v3
	s_waitcnt lgkmcnt(0)
	v_cmp_lt_u16_sdwa s[2:3], v10, v9 src0_sel:BYTE_0 src1_sel:BYTE_0
	v_cmp_lt_i32_e32 vcc, v6, v4
	s_or_b64 s[0:1], s[0:1], s[2:3]
	s_and_b64 vcc, vcc, s[0:1]
	v_cndmask_b32_e32 v3, v9, v10, vcc
	v_and_b32_e32 v5, 0x3c0, v2
	s_barrier
	ds_write_b8 v2, v7
	ds_write_b8 v2, v3 offset:1
	v_or_b32_e32 v3, 32, v5
	v_add_u32_e32 v4, 64, v5
	v_and_b32_e32 v7, 62, v2
	v_sub_u32_e32 v6, v4, v3
	v_sub_u32_e32 v8, v3, v5
	;; [unrolled: 1-line block ×3, first 2 shown]
	v_cmp_ge_i32_e32 vcc, v7, v6
	v_cndmask_b32_e32 v6, 0, v9, vcc
	v_min_i32_e32 v8, v7, v8
	v_cmp_lt_i32_e32 vcc, v6, v8
	v_add_u32_e32 v7, v3, v7
	s_waitcnt lgkmcnt(0)
	s_barrier
	s_and_saveexec_b64 s[0:1], vcc
	s_cbranch_execz .LBB0_36
; %bb.33:
	s_mov_b64 s[2:3], 0
.LBB0_34:                               ; =>This Inner Loop Header: Depth=1
	v_sub_u32_e32 v9, v8, v6
	v_lshrrev_b32_e32 v9, 1, v9
	v_add_u32_e32 v9, v9, v6
	v_add_u32_e32 v10, v5, v9
	v_xad_u32 v11, v9, -1, v7
	ds_read_u8 v10, v10
	ds_read_u8 v11, v11
	v_add_u32_e32 v12, 1, v9
	s_waitcnt lgkmcnt(0)
	v_cmp_lt_u16_e32 vcc, v11, v10
	v_cndmask_b32_e32 v8, v8, v9, vcc
	v_cndmask_b32_e32 v6, v12, v6, vcc
	v_cmp_ge_i32_e32 vcc, v6, v8
	s_or_b64 s[2:3], vcc, s[2:3]
	s_andn2_b64 exec, exec, s[2:3]
	s_cbranch_execnz .LBB0_34
; %bb.35:
	s_or_b64 exec, exec, s[2:3]
.LBB0_36:
	s_or_b64 exec, exec, s[0:1]
	v_add_u32_e32 v5, v6, v5
	v_sub_u32_e32 v6, v7, v6
	ds_read_u8 v7, v5
	ds_read_u8 v8, v6
	v_cmp_le_i32_e64 s[0:1], v3, v5
	v_cmp_gt_i32_e32 vcc, v4, v6
                                        ; implicit-def: $vgpr9
	s_waitcnt lgkmcnt(0)
	v_cmp_lt_u16_sdwa s[2:3], v8, v7 src0_sel:BYTE_0 src1_sel:BYTE_0
	s_or_b64 s[0:1], s[0:1], s[2:3]
	s_and_b64 vcc, vcc, s[0:1]
	s_xor_b64 s[0:1], vcc, -1
	s_and_saveexec_b64 s[2:3], s[0:1]
	s_xor_b64 s[0:1], exec, s[2:3]
; %bb.37:
	ds_read_u8 v9, v5 offset:1
; %bb.38:
	s_or_saveexec_b64 s[0:1], s[0:1]
	v_mov_b32_e32 v10, v8
	s_xor_b64 exec, exec, s[0:1]
	s_cbranch_execz .LBB0_40
; %bb.39:
	ds_read_u8 v10, v6 offset:1
	s_waitcnt lgkmcnt(1)
	v_mov_b32_e32 v9, v7
.LBB0_40:
	s_or_b64 exec, exec, s[0:1]
	v_add_u32_e32 v11, 1, v5
	v_cndmask_b32_e32 v7, v7, v8, vcc
	v_add_u32_e32 v8, 1, v6
	v_cndmask_b32_e32 v5, v11, v5, vcc
	v_cndmask_b32_e32 v6, v6, v8, vcc
	v_cmp_ge_i32_e64 s[0:1], v5, v3
	s_waitcnt lgkmcnt(0)
	v_cmp_lt_u16_sdwa s[2:3], v10, v9 src0_sel:BYTE_0 src1_sel:BYTE_0
	v_cmp_lt_i32_e32 vcc, v6, v4
	s_or_b64 s[0:1], s[0:1], s[2:3]
	s_and_b64 vcc, vcc, s[0:1]
	v_cndmask_b32_e32 v3, v9, v10, vcc
	v_and_b32_e32 v5, 0x380, v2
	s_barrier
	ds_write_b8 v2, v7
	ds_write_b8 v2, v3 offset:1
	v_or_b32_e32 v3, 64, v5
	v_add_u32_e32 v4, 0x80, v5
	v_and_b32_e32 v7, 0x7e, v2
	v_sub_u32_e32 v6, v4, v3
	v_sub_u32_e32 v8, v3, v5
	;; [unrolled: 1-line block ×3, first 2 shown]
	v_cmp_ge_i32_e32 vcc, v7, v6
	v_cndmask_b32_e32 v6, 0, v9, vcc
	v_min_i32_e32 v8, v7, v8
	v_cmp_lt_i32_e32 vcc, v6, v8
	v_add_u32_e32 v7, v3, v7
	s_waitcnt lgkmcnt(0)
	s_barrier
	s_and_saveexec_b64 s[0:1], vcc
	s_cbranch_execz .LBB0_44
; %bb.41:
	s_mov_b64 s[2:3], 0
.LBB0_42:                               ; =>This Inner Loop Header: Depth=1
	v_sub_u32_e32 v9, v8, v6
	v_lshrrev_b32_e32 v9, 1, v9
	v_add_u32_e32 v9, v9, v6
	v_add_u32_e32 v10, v5, v9
	v_xad_u32 v11, v9, -1, v7
	ds_read_u8 v10, v10
	ds_read_u8 v11, v11
	v_add_u32_e32 v12, 1, v9
	s_waitcnt lgkmcnt(0)
	v_cmp_lt_u16_e32 vcc, v11, v10
	v_cndmask_b32_e32 v8, v8, v9, vcc
	v_cndmask_b32_e32 v6, v12, v6, vcc
	v_cmp_ge_i32_e32 vcc, v6, v8
	s_or_b64 s[2:3], vcc, s[2:3]
	s_andn2_b64 exec, exec, s[2:3]
	s_cbranch_execnz .LBB0_42
; %bb.43:
	s_or_b64 exec, exec, s[2:3]
.LBB0_44:
	s_or_b64 exec, exec, s[0:1]
	v_add_u32_e32 v5, v6, v5
	v_sub_u32_e32 v6, v7, v6
	ds_read_u8 v7, v5
	ds_read_u8 v8, v6
	v_cmp_le_i32_e64 s[0:1], v3, v5
	v_cmp_gt_i32_e32 vcc, v4, v6
                                        ; implicit-def: $vgpr9
	s_waitcnt lgkmcnt(0)
	v_cmp_lt_u16_sdwa s[2:3], v8, v7 src0_sel:BYTE_0 src1_sel:BYTE_0
	s_or_b64 s[0:1], s[0:1], s[2:3]
	s_and_b64 vcc, vcc, s[0:1]
	s_xor_b64 s[0:1], vcc, -1
	s_and_saveexec_b64 s[2:3], s[0:1]
	s_xor_b64 s[0:1], exec, s[2:3]
; %bb.45:
	ds_read_u8 v9, v5 offset:1
; %bb.46:
	s_or_saveexec_b64 s[0:1], s[0:1]
	v_mov_b32_e32 v10, v8
	s_xor_b64 exec, exec, s[0:1]
	s_cbranch_execz .LBB0_48
; %bb.47:
	ds_read_u8 v10, v6 offset:1
	s_waitcnt lgkmcnt(1)
	v_mov_b32_e32 v9, v7
.LBB0_48:
	s_or_b64 exec, exec, s[0:1]
	v_add_u32_e32 v11, 1, v5
	v_cndmask_b32_e32 v7, v7, v8, vcc
	v_add_u32_e32 v8, 1, v6
	v_cndmask_b32_e32 v5, v11, v5, vcc
	v_cndmask_b32_e32 v6, v6, v8, vcc
	v_cmp_ge_i32_e64 s[0:1], v5, v3
	s_waitcnt lgkmcnt(0)
	v_cmp_lt_u16_sdwa s[2:3], v10, v9 src0_sel:BYTE_0 src1_sel:BYTE_0
	v_cmp_lt_i32_e32 vcc, v6, v4
	s_or_b64 s[0:1], s[0:1], s[2:3]
	s_and_b64 vcc, vcc, s[0:1]
	v_cndmask_b32_e32 v3, v9, v10, vcc
	v_and_b32_e32 v5, 0x300, v2
	s_barrier
	ds_write_b8 v2, v7
	ds_write_b8 v2, v3 offset:1
	v_or_b32_e32 v3, 0x80, v5
	v_add_u32_e32 v4, 0x100, v5
	v_and_b32_e32 v7, 0xfe, v2
	v_sub_u32_e32 v6, v4, v3
	v_sub_u32_e32 v8, v3, v5
	;; [unrolled: 1-line block ×3, first 2 shown]
	v_cmp_ge_i32_e32 vcc, v7, v6
	v_cndmask_b32_e32 v6, 0, v9, vcc
	v_min_i32_e32 v8, v7, v8
	v_cmp_lt_i32_e32 vcc, v6, v8
	v_add_u32_e32 v7, v3, v7
	s_waitcnt lgkmcnt(0)
	s_barrier
	s_and_saveexec_b64 s[0:1], vcc
	s_cbranch_execz .LBB0_52
; %bb.49:
	s_mov_b64 s[2:3], 0
.LBB0_50:                               ; =>This Inner Loop Header: Depth=1
	v_sub_u32_e32 v9, v8, v6
	v_lshrrev_b32_e32 v9, 1, v9
	v_add_u32_e32 v9, v9, v6
	v_add_u32_e32 v10, v5, v9
	v_xad_u32 v11, v9, -1, v7
	ds_read_u8 v10, v10
	ds_read_u8 v11, v11
	v_add_u32_e32 v12, 1, v9
	s_waitcnt lgkmcnt(0)
	v_cmp_lt_u16_e32 vcc, v11, v10
	v_cndmask_b32_e32 v8, v8, v9, vcc
	v_cndmask_b32_e32 v6, v12, v6, vcc
	v_cmp_ge_i32_e32 vcc, v6, v8
	s_or_b64 s[2:3], vcc, s[2:3]
	s_andn2_b64 exec, exec, s[2:3]
	s_cbranch_execnz .LBB0_50
; %bb.51:
	s_or_b64 exec, exec, s[2:3]
.LBB0_52:
	s_or_b64 exec, exec, s[0:1]
	v_add_u32_e32 v5, v6, v5
	v_sub_u32_e32 v6, v7, v6
	ds_read_u8 v7, v5
	ds_read_u8 v8, v6
	v_cmp_le_i32_e64 s[0:1], v3, v5
	v_cmp_gt_i32_e32 vcc, v4, v6
                                        ; implicit-def: $vgpr9
	s_waitcnt lgkmcnt(0)
	v_cmp_lt_u16_sdwa s[2:3], v8, v7 src0_sel:BYTE_0 src1_sel:BYTE_0
	s_or_b64 s[0:1], s[0:1], s[2:3]
	s_and_b64 vcc, vcc, s[0:1]
	s_xor_b64 s[0:1], vcc, -1
	s_and_saveexec_b64 s[2:3], s[0:1]
	s_xor_b64 s[0:1], exec, s[2:3]
; %bb.53:
	ds_read_u8 v9, v5 offset:1
; %bb.54:
	s_or_saveexec_b64 s[0:1], s[0:1]
	v_mov_b32_e32 v10, v8
	s_xor_b64 exec, exec, s[0:1]
	s_cbranch_execz .LBB0_56
; %bb.55:
	ds_read_u8 v10, v6 offset:1
	s_waitcnt lgkmcnt(1)
	v_mov_b32_e32 v9, v7
.LBB0_56:
	s_or_b64 exec, exec, s[0:1]
	v_add_u32_e32 v11, 1, v5
	v_cndmask_b32_e32 v7, v7, v8, vcc
	v_add_u32_e32 v8, 1, v6
	v_cndmask_b32_e32 v5, v11, v5, vcc
	v_cndmask_b32_e32 v6, v6, v8, vcc
	v_cmp_ge_i32_e64 s[0:1], v5, v3
	s_waitcnt lgkmcnt(0)
	v_cmp_lt_u16_sdwa s[2:3], v10, v9 src0_sel:BYTE_0 src1_sel:BYTE_0
	v_cmp_lt_i32_e32 vcc, v6, v4
	s_or_b64 s[0:1], s[0:1], s[2:3]
	s_and_b64 vcc, vcc, s[0:1]
	v_cndmask_b32_e32 v3, v9, v10, vcc
	v_and_b32_e32 v5, 0x200, v2
	s_barrier
	ds_write_b8 v2, v7
	ds_write_b8 v2, v3 offset:1
	v_or_b32_e32 v3, 0x100, v5
	v_add_u32_e32 v4, 0x200, v5
	v_and_b32_e32 v7, 0x1fe, v2
	v_sub_u32_e32 v6, v4, v3
	v_sub_u32_e32 v8, v3, v5
	;; [unrolled: 1-line block ×3, first 2 shown]
	v_cmp_ge_i32_e32 vcc, v7, v6
	v_cndmask_b32_e32 v6, 0, v9, vcc
	v_min_i32_e32 v8, v7, v8
	v_cmp_lt_i32_e32 vcc, v6, v8
	v_add_u32_e32 v7, v3, v7
	s_waitcnt lgkmcnt(0)
	s_barrier
	s_and_saveexec_b64 s[0:1], vcc
	s_cbranch_execz .LBB0_60
; %bb.57:
	s_mov_b64 s[2:3], 0
.LBB0_58:                               ; =>This Inner Loop Header: Depth=1
	v_sub_u32_e32 v9, v8, v6
	v_lshrrev_b32_e32 v9, 1, v9
	v_add_u32_e32 v9, v9, v6
	v_add_u32_e32 v10, v5, v9
	v_xad_u32 v11, v9, -1, v7
	ds_read_u8 v10, v10
	ds_read_u8 v11, v11
	v_add_u32_e32 v12, 1, v9
	s_waitcnt lgkmcnt(0)
	v_cmp_lt_u16_e32 vcc, v11, v10
	v_cndmask_b32_e32 v8, v8, v9, vcc
	v_cndmask_b32_e32 v6, v12, v6, vcc
	v_cmp_ge_i32_e32 vcc, v6, v8
	s_or_b64 s[2:3], vcc, s[2:3]
	s_andn2_b64 exec, exec, s[2:3]
	s_cbranch_execnz .LBB0_58
; %bb.59:
	s_or_b64 exec, exec, s[2:3]
.LBB0_60:
	s_or_b64 exec, exec, s[0:1]
	v_add_u32_e32 v5, v6, v5
	v_sub_u32_e32 v6, v7, v6
	ds_read_u8 v7, v5
	ds_read_u8 v8, v6
	v_cmp_le_i32_e64 s[0:1], v3, v5
	v_cmp_gt_i32_e32 vcc, v4, v6
                                        ; implicit-def: $vgpr9
	s_waitcnt lgkmcnt(0)
	v_cmp_lt_u16_sdwa s[2:3], v8, v7 src0_sel:BYTE_0 src1_sel:BYTE_0
	s_or_b64 s[0:1], s[0:1], s[2:3]
	s_and_b64 vcc, vcc, s[0:1]
	s_xor_b64 s[0:1], vcc, -1
	s_and_saveexec_b64 s[2:3], s[0:1]
	s_xor_b64 s[0:1], exec, s[2:3]
; %bb.61:
	ds_read_u8 v9, v5 offset:1
; %bb.62:
	s_or_saveexec_b64 s[0:1], s[0:1]
	v_mov_b32_e32 v10, v8
	s_xor_b64 exec, exec, s[0:1]
	s_cbranch_execz .LBB0_64
; %bb.63:
	ds_read_u8 v10, v6 offset:1
	s_waitcnt lgkmcnt(1)
	v_mov_b32_e32 v9, v7
.LBB0_64:
	s_or_b64 exec, exec, s[0:1]
	v_add_u32_e32 v11, 1, v5
	v_cndmask_b32_e32 v7, v7, v8, vcc
	v_add_u32_e32 v8, 1, v6
	v_cndmask_b32_e32 v5, v11, v5, vcc
	v_cndmask_b32_e32 v6, v6, v8, vcc
	v_cmp_ge_i32_e64 s[0:1], v5, v3
	s_waitcnt lgkmcnt(0)
	v_cmp_lt_u16_sdwa s[2:3], v10, v9 src0_sel:BYTE_0 src1_sel:BYTE_0
	v_cmp_lt_i32_e32 vcc, v6, v4
	s_or_b64 s[0:1], s[0:1], s[2:3]
	s_and_b64 vcc, vcc, s[0:1]
	v_cndmask_b32_e32 v3, v9, v10, vcc
	s_barrier
	ds_write_b8 v2, v7
	ds_write_b8 v2, v3 offset:1
	v_and_b32_e32 v4, 0x3fe, v2
	v_mov_b32_e32 v2, 0x200
	v_sub_u32_e64 v3, v4, v2 clamp
	v_min_i32_e32 v5, 0x200, v4
	v_cmp_lt_i32_e32 vcc, v3, v5
	v_add_u32_e32 v4, 0x200, v4
	s_waitcnt lgkmcnt(0)
	s_barrier
	s_and_saveexec_b64 s[0:1], vcc
	s_cbranch_execz .LBB0_68
; %bb.65:
	s_mov_b64 s[2:3], 0
.LBB0_66:                               ; =>This Inner Loop Header: Depth=1
	v_sub_u32_e32 v6, v5, v3
	v_lshrrev_b32_e32 v6, 1, v6
	v_add_u32_e32 v6, v6, v3
	v_xad_u32 v7, v6, -1, v4
	ds_read_u8 v8, v6
	ds_read_u8 v7, v7
	v_add_u32_e32 v9, 1, v6
	s_waitcnt lgkmcnt(0)
	v_cmp_lt_u16_e32 vcc, v7, v8
	v_cndmask_b32_e32 v5, v5, v6, vcc
	v_cndmask_b32_e32 v3, v9, v3, vcc
	v_cmp_ge_i32_e32 vcc, v3, v5
	s_or_b64 s[2:3], vcc, s[2:3]
	s_andn2_b64 exec, exec, s[2:3]
	s_cbranch_execnz .LBB0_66
; %bb.67:
	s_or_b64 exec, exec, s[2:3]
.LBB0_68:
	s_or_b64 exec, exec, s[0:1]
	v_sub_u32_e32 v5, v4, v3
	ds_read_u8 v6, v3
	ds_read_u8 v4, v5
	s_movk_i32 s0, 0x3ff
	v_cmp_lt_i32_e32 vcc, s0, v5
	v_cmp_gt_i32_e64 s[0:1], v2, v3
                                        ; implicit-def: $vgpr7
                                        ; implicit-def: $vgpr8
	s_waitcnt lgkmcnt(0)
	v_cmp_ge_u16_sdwa s[2:3], v4, v6 src0_sel:BYTE_0 src1_sel:BYTE_0
	s_and_b64 s[0:1], s[0:1], s[2:3]
	s_or_b64 s[0:1], vcc, s[0:1]
	s_and_saveexec_b64 s[2:3], s[0:1]
	s_xor_b64 s[0:1], exec, s[2:3]
; %bb.69:
	ds_read_u8 v7, v3 offset:1
	v_add_u32_e32 v8, 1, v3
                                        ; implicit-def: $vgpr3
; %bb.70:
	s_or_saveexec_b64 s[0:1], s[0:1]
	v_mov_b32_e32 v9, v6
	s_xor_b64 exec, exec, s[0:1]
	s_cbranch_execz .LBB0_72
; %bb.71:
	ds_read_u8 v10, v5 offset:1
	s_waitcnt lgkmcnt(1)
	v_add_u32_e32 v7, 1, v5
	v_mov_b32_e32 v9, v4
	v_mov_b32_e32 v8, v3
	;; [unrolled: 1-line block ×4, first 2 shown]
	s_waitcnt lgkmcnt(0)
	v_mov_b32_e32 v4, v10
.LBB0_72:
	s_or_b64 exec, exec, s[0:1]
	s_movk_i32 s0, 0x400
	v_cmp_gt_i32_e32 vcc, s0, v5
	v_cmp_ge_i32_e64 s[0:1], v8, v2
	s_waitcnt lgkmcnt(0)
	v_cmp_lt_u16_sdwa s[2:3], v4, v7 src0_sel:BYTE_0 src1_sel:BYTE_0
	s_or_b64 s[0:1], s[0:1], s[2:3]
	s_and_b64 vcc, vcc, s[0:1]
	v_cndmask_b32_sdwa v2, v7, v4, vcc dst_sel:BYTE_1 dst_unused:UNUSED_PAD src0_sel:DWORD src1_sel:DWORD
	v_or_b32_sdwa v2, v9, v2 dst_sel:DWORD dst_unused:UNUSED_PAD src0_sel:BYTE_0 src1_sel:DWORD
	global_store_short v[0:1], v2, off
	s_endpgm
	.section	.rodata,"a",@progbits
	.p2align	6, 0x0
	.amdhsa_kernel _Z15sort_key_kernelILj512ELj2EhN10test_utils4lessEEvPT1_T2_
		.amdhsa_group_segment_fixed_size 1025
		.amdhsa_private_segment_fixed_size 0
		.amdhsa_kernarg_size 12
		.amdhsa_user_sgpr_count 6
		.amdhsa_user_sgpr_private_segment_buffer 1
		.amdhsa_user_sgpr_dispatch_ptr 0
		.amdhsa_user_sgpr_queue_ptr 0
		.amdhsa_user_sgpr_kernarg_segment_ptr 1
		.amdhsa_user_sgpr_dispatch_id 0
		.amdhsa_user_sgpr_flat_scratch_init 0
		.amdhsa_user_sgpr_private_segment_size 0
		.amdhsa_uses_dynamic_stack 0
		.amdhsa_system_sgpr_private_segment_wavefront_offset 0
		.amdhsa_system_sgpr_workgroup_id_x 1
		.amdhsa_system_sgpr_workgroup_id_y 0
		.amdhsa_system_sgpr_workgroup_id_z 0
		.amdhsa_system_sgpr_workgroup_info 0
		.amdhsa_system_vgpr_workitem_id 0
		.amdhsa_next_free_vgpr 13
		.amdhsa_next_free_sgpr 7
		.amdhsa_reserve_vcc 1
		.amdhsa_reserve_flat_scratch 0
		.amdhsa_float_round_mode_32 0
		.amdhsa_float_round_mode_16_64 0
		.amdhsa_float_denorm_mode_32 3
		.amdhsa_float_denorm_mode_16_64 3
		.amdhsa_dx10_clamp 1
		.amdhsa_ieee_mode 1
		.amdhsa_fp16_overflow 0
		.amdhsa_exception_fp_ieee_invalid_op 0
		.amdhsa_exception_fp_denorm_src 0
		.amdhsa_exception_fp_ieee_div_zero 0
		.amdhsa_exception_fp_ieee_overflow 0
		.amdhsa_exception_fp_ieee_underflow 0
		.amdhsa_exception_fp_ieee_inexact 0
		.amdhsa_exception_int_div_zero 0
	.end_amdhsa_kernel
	.section	.text._Z15sort_key_kernelILj512ELj2EhN10test_utils4lessEEvPT1_T2_,"axG",@progbits,_Z15sort_key_kernelILj512ELj2EhN10test_utils4lessEEvPT1_T2_,comdat
.Lfunc_end0:
	.size	_Z15sort_key_kernelILj512ELj2EhN10test_utils4lessEEvPT1_T2_, .Lfunc_end0-_Z15sort_key_kernelILj512ELj2EhN10test_utils4lessEEvPT1_T2_
                                        ; -- End function
	.set _Z15sort_key_kernelILj512ELj2EhN10test_utils4lessEEvPT1_T2_.num_vgpr, 13
	.set _Z15sort_key_kernelILj512ELj2EhN10test_utils4lessEEvPT1_T2_.num_agpr, 0
	.set _Z15sort_key_kernelILj512ELj2EhN10test_utils4lessEEvPT1_T2_.numbered_sgpr, 7
	.set _Z15sort_key_kernelILj512ELj2EhN10test_utils4lessEEvPT1_T2_.num_named_barrier, 0
	.set _Z15sort_key_kernelILj512ELj2EhN10test_utils4lessEEvPT1_T2_.private_seg_size, 0
	.set _Z15sort_key_kernelILj512ELj2EhN10test_utils4lessEEvPT1_T2_.uses_vcc, 1
	.set _Z15sort_key_kernelILj512ELj2EhN10test_utils4lessEEvPT1_T2_.uses_flat_scratch, 0
	.set _Z15sort_key_kernelILj512ELj2EhN10test_utils4lessEEvPT1_T2_.has_dyn_sized_stack, 0
	.set _Z15sort_key_kernelILj512ELj2EhN10test_utils4lessEEvPT1_T2_.has_recursion, 0
	.set _Z15sort_key_kernelILj512ELj2EhN10test_utils4lessEEvPT1_T2_.has_indirect_call, 0
	.section	.AMDGPU.csdata,"",@progbits
; Kernel info:
; codeLenInByte = 3244
; TotalNumSgprs: 11
; NumVgprs: 13
; ScratchSize: 0
; MemoryBound: 0
; FloatMode: 240
; IeeeMode: 1
; LDSByteSize: 1025 bytes/workgroup (compile time only)
; SGPRBlocks: 1
; VGPRBlocks: 3
; NumSGPRsForWavesPerEU: 11
; NumVGPRsForWavesPerEU: 13
; Occupancy: 10
; WaveLimiterHint : 0
; COMPUTE_PGM_RSRC2:SCRATCH_EN: 0
; COMPUTE_PGM_RSRC2:USER_SGPR: 6
; COMPUTE_PGM_RSRC2:TRAP_HANDLER: 0
; COMPUTE_PGM_RSRC2:TGID_X_EN: 1
; COMPUTE_PGM_RSRC2:TGID_Y_EN: 0
; COMPUTE_PGM_RSRC2:TGID_Z_EN: 0
; COMPUTE_PGM_RSRC2:TIDIG_COMP_CNT: 0
	.section	.text._Z15sort_key_kernelILj64ELj1EyN10test_utils4lessEEvPT1_T2_,"axG",@progbits,_Z15sort_key_kernelILj64ELj1EyN10test_utils4lessEEvPT1_T2_,comdat
	.protected	_Z15sort_key_kernelILj64ELj1EyN10test_utils4lessEEvPT1_T2_ ; -- Begin function _Z15sort_key_kernelILj64ELj1EyN10test_utils4lessEEvPT1_T2_
	.globl	_Z15sort_key_kernelILj64ELj1EyN10test_utils4lessEEvPT1_T2_
	.p2align	8
	.type	_Z15sort_key_kernelILj64ELj1EyN10test_utils4lessEEvPT1_T2_,@function
_Z15sort_key_kernelILj64ELj1EyN10test_utils4lessEEvPT1_T2_: ; @_Z15sort_key_kernelILj64ELj1EyN10test_utils4lessEEvPT1_T2_
; %bb.0:
	s_load_dwordx2 s[0:1], s[4:5], 0x0
	s_lshl_b32 s2, s6, 6
	s_mov_b32 s3, 0
	s_lshl_b64 s[2:3], s[2:3], 3
	v_lshlrev_b32_e32 v3, 3, v0
	s_waitcnt lgkmcnt(0)
	s_add_u32 s0, s0, s2
	s_addc_u32 s1, s1, s3
	global_load_dwordx2 v[10:11], v3, s[0:1]
	v_and_b32_e32 v5, 62, v0
	v_and_b32_e32 v6, 1, v0
	v_or_b32_e32 v4, 1, v5
	v_add_u32_e32 v1, -1, v6
	v_sub_u32_e32 v2, v4, v5
	v_cmp_lt_i32_e32 vcc, 0, v6
	v_cndmask_b32_e32 v7, 0, v1, vcc
	v_min_i32_e32 v9, v6, v2
	v_mov_b32_e32 v2, s1
	v_add_co_u32_e32 v1, vcc, s0, v3
	v_addc_co_u32_e32 v2, vcc, 0, v2, vcc
	v_lshlrev_b32_e32 v8, 3, v5
	v_cmp_lt_i32_e32 vcc, v7, v9
	s_waitcnt vmcnt(0)
	; wave barrier
	ds_write_b64 v3, v[10:11]
	s_waitcnt lgkmcnt(0)
	; wave barrier
	s_and_saveexec_b64 s[0:1], vcc
	s_cbranch_execz .LBB1_4
; %bb.1:
	v_lshlrev_b32_e32 v10, 3, v6
	v_lshl_add_u32 v10, v4, 3, v10
	s_mov_b64 s[2:3], 0
.LBB1_2:                                ; =>This Inner Loop Header: Depth=1
	v_sub_u32_e32 v11, v9, v7
	v_lshrrev_b32_e32 v11, 1, v11
	v_add_u32_e32 v15, v11, v7
	v_not_b32_e32 v12, v15
	v_lshl_add_u32 v11, v15, 3, v8
	v_lshl_add_u32 v13, v12, 3, v10
	ds_read_b64 v[11:12], v11
	ds_read_b64 v[13:14], v13
	v_add_u32_e32 v16, 1, v15
	s_waitcnt lgkmcnt(0)
	v_cmp_lt_u64_e32 vcc, v[13:14], v[11:12]
	v_cndmask_b32_e32 v9, v9, v15, vcc
	v_cndmask_b32_e32 v7, v16, v7, vcc
	v_cmp_ge_i32_e32 vcc, v7, v9
	s_or_b64 s[2:3], vcc, s[2:3]
	s_andn2_b64 exec, exec, s[2:3]
	s_cbranch_execnz .LBB1_2
; %bb.3:
	s_or_b64 exec, exec, s[2:3]
.LBB1_4:
	s_or_b64 exec, exec, s[0:1]
	v_add_u32_e32 v6, v4, v6
	v_sub_u32_e32 v6, v6, v7
	v_lshl_add_u32 v8, v7, 3, v8
	v_lshlrev_b32_e32 v10, 3, v6
	ds_read_b64 v[8:9], v8
	ds_read_b64 v[10:11], v10
	v_add_u32_e32 v5, v7, v5
	v_cmp_le_i32_e32 vcc, v4, v5
	v_cmp_ge_i32_e64 s[2:3], v4, v6
	s_waitcnt lgkmcnt(0)
	v_cmp_lt_u64_e64 s[0:1], v[10:11], v[8:9]
	; wave barrier
	s_or_b64 s[0:1], vcc, s[0:1]
	s_and_b64 vcc, s[2:3], s[0:1]
	v_cndmask_b32_e32 v5, v9, v11, vcc
	v_cndmask_b32_e32 v4, v8, v10, vcc
	ds_write_b64 v3, v[4:5]
	v_and_b32_e32 v5, 60, v0
	v_or_b32_e32 v6, 2, v5
	v_add_u32_e32 v4, 4, v5
	v_and_b32_e32 v7, 3, v0
	v_sub_u32_e32 v8, v4, v6
	v_sub_u32_e32 v10, v6, v5
	;; [unrolled: 1-line block ×3, first 2 shown]
	v_cmp_ge_i32_e32 vcc, v7, v8
	v_cndmask_b32_e32 v8, 0, v11, vcc
	v_min_i32_e32 v10, v7, v10
	v_lshlrev_b32_e32 v9, 3, v5
	v_cmp_lt_i32_e32 vcc, v8, v10
	s_waitcnt lgkmcnt(0)
	; wave barrier
	s_and_saveexec_b64 s[0:1], vcc
	s_cbranch_execz .LBB1_8
; %bb.5:
	v_lshlrev_b32_e32 v11, 3, v7
	v_lshl_add_u32 v11, v6, 3, v11
	s_mov_b64 s[2:3], 0
.LBB1_6:                                ; =>This Inner Loop Header: Depth=1
	v_sub_u32_e32 v12, v10, v8
	v_lshrrev_b32_e32 v12, 1, v12
	v_add_u32_e32 v16, v12, v8
	v_not_b32_e32 v13, v16
	v_lshl_add_u32 v12, v16, 3, v9
	v_lshl_add_u32 v14, v13, 3, v11
	ds_read_b64 v[12:13], v12
	ds_read_b64 v[14:15], v14
	v_add_u32_e32 v17, 1, v16
	s_waitcnt lgkmcnt(0)
	v_cmp_lt_u64_e32 vcc, v[14:15], v[12:13]
	v_cndmask_b32_e32 v10, v10, v16, vcc
	v_cndmask_b32_e32 v8, v17, v8, vcc
	v_cmp_ge_i32_e32 vcc, v8, v10
	s_or_b64 s[2:3], vcc, s[2:3]
	s_andn2_b64 exec, exec, s[2:3]
	s_cbranch_execnz .LBB1_6
; %bb.7:
	s_or_b64 exec, exec, s[2:3]
.LBB1_8:
	s_or_b64 exec, exec, s[0:1]
	v_add_u32_e32 v7, v6, v7
	v_sub_u32_e32 v7, v7, v8
	v_lshl_add_u32 v9, v8, 3, v9
	v_lshlrev_b32_e32 v11, 3, v7
	ds_read_b64 v[9:10], v9
	ds_read_b64 v[11:12], v11
	v_add_u32_e32 v5, v8, v5
	v_cmp_le_i32_e32 vcc, v6, v5
	v_cmp_gt_i32_e64 s[2:3], v4, v7
	s_waitcnt lgkmcnt(0)
	v_cmp_lt_u64_e64 s[0:1], v[11:12], v[9:10]
	; wave barrier
	s_or_b64 s[0:1], vcc, s[0:1]
	s_and_b64 vcc, s[2:3], s[0:1]
	v_cndmask_b32_e32 v5, v10, v12, vcc
	v_cndmask_b32_e32 v4, v9, v11, vcc
	ds_write_b64 v3, v[4:5]
	v_and_b32_e32 v5, 56, v0
	v_or_b32_e32 v6, 4, v5
	v_add_u32_e32 v4, 8, v5
	v_and_b32_e32 v7, 7, v0
	v_sub_u32_e32 v8, v4, v6
	v_sub_u32_e32 v10, v6, v5
	v_sub_u32_e32 v11, v7, v8
	v_cmp_ge_i32_e32 vcc, v7, v8
	v_cndmask_b32_e32 v8, 0, v11, vcc
	v_min_i32_e32 v10, v7, v10
	v_lshlrev_b32_e32 v9, 3, v5
	v_cmp_lt_i32_e32 vcc, v8, v10
	s_waitcnt lgkmcnt(0)
	; wave barrier
	s_and_saveexec_b64 s[0:1], vcc
	s_cbranch_execz .LBB1_12
; %bb.9:
	v_lshlrev_b32_e32 v11, 3, v7
	v_lshl_add_u32 v11, v6, 3, v11
	s_mov_b64 s[2:3], 0
.LBB1_10:                               ; =>This Inner Loop Header: Depth=1
	v_sub_u32_e32 v12, v10, v8
	v_lshrrev_b32_e32 v12, 1, v12
	v_add_u32_e32 v16, v12, v8
	v_not_b32_e32 v13, v16
	v_lshl_add_u32 v12, v16, 3, v9
	v_lshl_add_u32 v14, v13, 3, v11
	ds_read_b64 v[12:13], v12
	ds_read_b64 v[14:15], v14
	v_add_u32_e32 v17, 1, v16
	s_waitcnt lgkmcnt(0)
	v_cmp_lt_u64_e32 vcc, v[14:15], v[12:13]
	v_cndmask_b32_e32 v10, v10, v16, vcc
	v_cndmask_b32_e32 v8, v17, v8, vcc
	v_cmp_ge_i32_e32 vcc, v8, v10
	s_or_b64 s[2:3], vcc, s[2:3]
	s_andn2_b64 exec, exec, s[2:3]
	s_cbranch_execnz .LBB1_10
; %bb.11:
	s_or_b64 exec, exec, s[2:3]
.LBB1_12:
	s_or_b64 exec, exec, s[0:1]
	v_add_u32_e32 v7, v6, v7
	v_sub_u32_e32 v7, v7, v8
	v_lshl_add_u32 v9, v8, 3, v9
	v_lshlrev_b32_e32 v11, 3, v7
	ds_read_b64 v[9:10], v9
	ds_read_b64 v[11:12], v11
	v_add_u32_e32 v5, v8, v5
	v_cmp_le_i32_e32 vcc, v6, v5
	v_cmp_gt_i32_e64 s[2:3], v4, v7
	s_waitcnt lgkmcnt(0)
	v_cmp_lt_u64_e64 s[0:1], v[11:12], v[9:10]
	; wave barrier
	s_or_b64 s[0:1], vcc, s[0:1]
	s_and_b64 vcc, s[2:3], s[0:1]
	v_cndmask_b32_e32 v5, v10, v12, vcc
	v_cndmask_b32_e32 v4, v9, v11, vcc
	ds_write_b64 v3, v[4:5]
	v_and_b32_e32 v5, 48, v0
	v_or_b32_e32 v6, 8, v5
	v_add_u32_e32 v4, 16, v5
	v_and_b32_e32 v7, 15, v0
	v_sub_u32_e32 v8, v4, v6
	v_sub_u32_e32 v10, v6, v5
	v_sub_u32_e32 v11, v7, v8
	v_cmp_ge_i32_e32 vcc, v7, v8
	v_cndmask_b32_e32 v8, 0, v11, vcc
	v_min_i32_e32 v10, v7, v10
	v_lshlrev_b32_e32 v9, 3, v5
	v_cmp_lt_i32_e32 vcc, v8, v10
	s_waitcnt lgkmcnt(0)
	; wave barrier
	s_and_saveexec_b64 s[0:1], vcc
	s_cbranch_execz .LBB1_16
; %bb.13:
	v_lshlrev_b32_e32 v11, 3, v7
	v_lshl_add_u32 v11, v6, 3, v11
	s_mov_b64 s[2:3], 0
.LBB1_14:                               ; =>This Inner Loop Header: Depth=1
	v_sub_u32_e32 v12, v10, v8
	v_lshrrev_b32_e32 v12, 1, v12
	v_add_u32_e32 v16, v12, v8
	v_not_b32_e32 v13, v16
	v_lshl_add_u32 v12, v16, 3, v9
	v_lshl_add_u32 v14, v13, 3, v11
	ds_read_b64 v[12:13], v12
	ds_read_b64 v[14:15], v14
	v_add_u32_e32 v17, 1, v16
	s_waitcnt lgkmcnt(0)
	v_cmp_lt_u64_e32 vcc, v[14:15], v[12:13]
	v_cndmask_b32_e32 v10, v10, v16, vcc
	v_cndmask_b32_e32 v8, v17, v8, vcc
	v_cmp_ge_i32_e32 vcc, v8, v10
	s_or_b64 s[2:3], vcc, s[2:3]
	s_andn2_b64 exec, exec, s[2:3]
	s_cbranch_execnz .LBB1_14
; %bb.15:
	s_or_b64 exec, exec, s[2:3]
.LBB1_16:
	;; [unrolled: 59-line block ×3, first 2 shown]
	s_or_b64 exec, exec, s[0:1]
	v_add_u32_e32 v7, v6, v7
	v_sub_u32_e32 v7, v7, v8
	v_lshl_add_u32 v9, v8, 3, v9
	v_lshlrev_b32_e32 v11, 3, v7
	ds_read_b64 v[9:10], v9
	ds_read_b64 v[11:12], v11
	v_add_u32_e32 v5, v8, v5
	v_cmp_le_i32_e32 vcc, v6, v5
	v_cmp_gt_i32_e64 s[2:3], v4, v7
	s_waitcnt lgkmcnt(0)
	v_cmp_lt_u64_e64 s[0:1], v[11:12], v[9:10]
	; wave barrier
	s_or_b64 s[0:1], vcc, s[0:1]
	s_and_b64 vcc, s[2:3], s[0:1]
	v_cndmask_b32_e32 v5, v10, v12, vcc
	v_cndmask_b32_e32 v4, v9, v11, vcc
	ds_write_b64 v3, v[4:5]
	v_sub_u32_e64 v4, v0, 32 clamp
	v_min_i32_e32 v5, 32, v0
	v_cmp_lt_i32_e32 vcc, v4, v5
	s_waitcnt lgkmcnt(0)
	; wave barrier
	s_and_saveexec_b64 s[0:1], vcc
	s_cbranch_execz .LBB1_24
; %bb.21:
	v_lshl_add_u32 v3, 32, 3, v3
	s_mov_b64 s[2:3], 0
.LBB1_22:                               ; =>This Inner Loop Header: Depth=1
	v_sub_u32_e32 v6, v5, v4
	v_lshrrev_b32_e32 v6, 1, v6
	v_add_u32_e32 v10, v6, v4
	v_not_b32_e32 v7, v10
	v_lshlrev_b32_e32 v6, 3, v10
	v_lshl_add_u32 v8, v7, 3, v3
	ds_read_b64 v[6:7], v6
	ds_read_b64 v[8:9], v8
	v_add_u32_e32 v11, 1, v10
	s_waitcnt lgkmcnt(0)
	v_cmp_lt_u64_e32 vcc, v[8:9], v[6:7]
	v_cndmask_b32_e32 v5, v5, v10, vcc
	v_cndmask_b32_e32 v4, v11, v4, vcc
	v_cmp_ge_i32_e32 vcc, v4, v5
	s_or_b64 s[2:3], vcc, s[2:3]
	s_andn2_b64 exec, exec, s[2:3]
	s_cbranch_execnz .LBB1_22
; %bb.23:
	s_or_b64 exec, exec, s[2:3]
.LBB1_24:
	s_or_b64 exec, exec, s[0:1]
	v_add_u32_e32 v0, 32, v0
	v_sub_u32_e32 v0, v0, v4
	v_lshlrev_b32_e32 v3, 3, v4
	v_lshlrev_b32_e32 v7, 3, v0
	ds_read_b64 v[5:6], v3
	ds_read_b64 v[7:8], v7
	v_cmp_le_i32_e32 vcc, 32, v4
	v_cmp_gt_i32_e64 s[2:3], 64, v0
	s_waitcnt lgkmcnt(0)
	v_cmp_lt_u64_e64 s[0:1], v[7:8], v[5:6]
	s_or_b64 s[0:1], vcc, s[0:1]
	s_and_b64 vcc, s[2:3], s[0:1]
	v_cndmask_b32_e32 v4, v6, v8, vcc
	v_cndmask_b32_e32 v3, v5, v7, vcc
	global_store_dwordx2 v[1:2], v[3:4], off
	s_endpgm
	.section	.rodata,"a",@progbits
	.p2align	6, 0x0
	.amdhsa_kernel _Z15sort_key_kernelILj64ELj1EyN10test_utils4lessEEvPT1_T2_
		.amdhsa_group_segment_fixed_size 520
		.amdhsa_private_segment_fixed_size 0
		.amdhsa_kernarg_size 12
		.amdhsa_user_sgpr_count 6
		.amdhsa_user_sgpr_private_segment_buffer 1
		.amdhsa_user_sgpr_dispatch_ptr 0
		.amdhsa_user_sgpr_queue_ptr 0
		.amdhsa_user_sgpr_kernarg_segment_ptr 1
		.amdhsa_user_sgpr_dispatch_id 0
		.amdhsa_user_sgpr_flat_scratch_init 0
		.amdhsa_user_sgpr_private_segment_size 0
		.amdhsa_uses_dynamic_stack 0
		.amdhsa_system_sgpr_private_segment_wavefront_offset 0
		.amdhsa_system_sgpr_workgroup_id_x 1
		.amdhsa_system_sgpr_workgroup_id_y 0
		.amdhsa_system_sgpr_workgroup_id_z 0
		.amdhsa_system_sgpr_workgroup_info 0
		.amdhsa_system_vgpr_workitem_id 0
		.amdhsa_next_free_vgpr 18
		.amdhsa_next_free_sgpr 7
		.amdhsa_reserve_vcc 1
		.amdhsa_reserve_flat_scratch 0
		.amdhsa_float_round_mode_32 0
		.amdhsa_float_round_mode_16_64 0
		.amdhsa_float_denorm_mode_32 3
		.amdhsa_float_denorm_mode_16_64 3
		.amdhsa_dx10_clamp 1
		.amdhsa_ieee_mode 1
		.amdhsa_fp16_overflow 0
		.amdhsa_exception_fp_ieee_invalid_op 0
		.amdhsa_exception_fp_denorm_src 0
		.amdhsa_exception_fp_ieee_div_zero 0
		.amdhsa_exception_fp_ieee_overflow 0
		.amdhsa_exception_fp_ieee_underflow 0
		.amdhsa_exception_fp_ieee_inexact 0
		.amdhsa_exception_int_div_zero 0
	.end_amdhsa_kernel
	.section	.text._Z15sort_key_kernelILj64ELj1EyN10test_utils4lessEEvPT1_T2_,"axG",@progbits,_Z15sort_key_kernelILj64ELj1EyN10test_utils4lessEEvPT1_T2_,comdat
.Lfunc_end1:
	.size	_Z15sort_key_kernelILj64ELj1EyN10test_utils4lessEEvPT1_T2_, .Lfunc_end1-_Z15sort_key_kernelILj64ELj1EyN10test_utils4lessEEvPT1_T2_
                                        ; -- End function
	.set _Z15sort_key_kernelILj64ELj1EyN10test_utils4lessEEvPT1_T2_.num_vgpr, 18
	.set _Z15sort_key_kernelILj64ELj1EyN10test_utils4lessEEvPT1_T2_.num_agpr, 0
	.set _Z15sort_key_kernelILj64ELj1EyN10test_utils4lessEEvPT1_T2_.numbered_sgpr, 7
	.set _Z15sort_key_kernelILj64ELj1EyN10test_utils4lessEEvPT1_T2_.num_named_barrier, 0
	.set _Z15sort_key_kernelILj64ELj1EyN10test_utils4lessEEvPT1_T2_.private_seg_size, 0
	.set _Z15sort_key_kernelILj64ELj1EyN10test_utils4lessEEvPT1_T2_.uses_vcc, 1
	.set _Z15sort_key_kernelILj64ELj1EyN10test_utils4lessEEvPT1_T2_.uses_flat_scratch, 0
	.set _Z15sort_key_kernelILj64ELj1EyN10test_utils4lessEEvPT1_T2_.has_dyn_sized_stack, 0
	.set _Z15sort_key_kernelILj64ELj1EyN10test_utils4lessEEvPT1_T2_.has_recursion, 0
	.set _Z15sort_key_kernelILj64ELj1EyN10test_utils4lessEEvPT1_T2_.has_indirect_call, 0
	.section	.AMDGPU.csdata,"",@progbits
; Kernel info:
; codeLenInByte = 1552
; TotalNumSgprs: 11
; NumVgprs: 18
; ScratchSize: 0
; MemoryBound: 0
; FloatMode: 240
; IeeeMode: 1
; LDSByteSize: 520 bytes/workgroup (compile time only)
; SGPRBlocks: 1
; VGPRBlocks: 4
; NumSGPRsForWavesPerEU: 11
; NumVGPRsForWavesPerEU: 18
; Occupancy: 10
; WaveLimiterHint : 0
; COMPUTE_PGM_RSRC2:SCRATCH_EN: 0
; COMPUTE_PGM_RSRC2:USER_SGPR: 6
; COMPUTE_PGM_RSRC2:TRAP_HANDLER: 0
; COMPUTE_PGM_RSRC2:TGID_X_EN: 1
; COMPUTE_PGM_RSRC2:TGID_Y_EN: 0
; COMPUTE_PGM_RSRC2:TGID_Z_EN: 0
; COMPUTE_PGM_RSRC2:TIDIG_COMP_CNT: 0
	.section	.text._Z15sort_key_kernelILj256ELj7EtN10test_utils4lessEEvPT1_T2_,"axG",@progbits,_Z15sort_key_kernelILj256ELj7EtN10test_utils4lessEEvPT1_T2_,comdat
	.protected	_Z15sort_key_kernelILj256ELj7EtN10test_utils4lessEEvPT1_T2_ ; -- Begin function _Z15sort_key_kernelILj256ELj7EtN10test_utils4lessEEvPT1_T2_
	.globl	_Z15sort_key_kernelILj256ELj7EtN10test_utils4lessEEvPT1_T2_
	.p2align	8
	.type	_Z15sort_key_kernelILj256ELj7EtN10test_utils4lessEEvPT1_T2_,@function
_Z15sort_key_kernelILj256ELj7EtN10test_utils4lessEEvPT1_T2_: ; @_Z15sort_key_kernelILj256ELj7EtN10test_utils4lessEEvPT1_T2_
; %bb.0:
	s_load_dwordx2 s[0:1], s[4:5], 0x0
	s_mul_i32 s2, s6, 0x700
	s_mov_b32 s3, 0
	s_lshl_b64 s[2:3], s[2:3], 1
	v_mul_u32_u24_e32 v3, 7, v0
	s_waitcnt lgkmcnt(0)
	s_add_u32 s0, s0, s2
	s_addc_u32 s1, s1, s3
	v_lshlrev_b32_e32 v4, 1, v3
	global_load_ushort v8, v4, s[0:1] offset:12
	global_load_dwordx3 v[5:7], v4, s[0:1]
	v_mov_b32_e32 v2, s1
	v_add_co_u32_e32 v1, vcc, s0, v4
	v_addc_co_u32_e32 v2, vcc, 0, v2, vcc
	s_mov_b32 s5, 0xffff
	s_mov_b32 s4, 0x5040100
	s_waitcnt vmcnt(0)
	s_barrier
	v_and_b32_e32 v9, 0xffff, v8
	v_alignbit_b32 v10, v5, v5, 16
	v_cmp_lt_u16_sdwa vcc, v5, v5 src0_sel:WORD_1 src1_sel:DWORD
	v_min_u16_sdwa v11, v5, v5 dst_sel:DWORD dst_unused:UNUSED_PAD src0_sel:WORD_1 src1_sel:DWORD
	v_max_u16_sdwa v12, v5, v5 dst_sel:DWORD dst_unused:UNUSED_PAD src0_sel:WORD_1 src1_sel:DWORD
	v_alignbit_b32 v13, v6, v6, 16
	v_cndmask_b32_e32 v5, v5, v10, vcc
	v_cmp_lt_u16_sdwa vcc, v6, v6 src0_sel:WORD_1 src1_sel:DWORD
	v_max_u16_sdwa v14, v6, v6 dst_sel:DWORD dst_unused:UNUSED_PAD src0_sel:WORD_1 src1_sel:DWORD
	v_min_u16_sdwa v15, v6, v6 dst_sel:DWORD dst_unused:UNUSED_PAD src0_sel:WORD_1 src1_sel:DWORD
	v_alignbit_b32 v16, v7, v7, 16
	v_cndmask_b32_e32 v6, v6, v13, vcc
	v_cmp_lt_u16_sdwa vcc, v7, v7 src0_sel:WORD_1 src1_sel:DWORD
	v_max_u16_sdwa v17, v7, v7 dst_sel:DWORD dst_unused:UNUSED_PAD src0_sel:WORD_1 src1_sel:DWORD
	v_min_u16_sdwa v18, v7, v7 dst_sel:DWORD dst_unused:UNUSED_PAD src0_sel:WORD_1 src1_sel:DWORD
	v_cndmask_b32_e32 v7, v7, v16, vcc
	v_max_u16_e32 v10, v15, v12
	v_min_u16_e32 v13, v15, v12
	v_cmp_lt_u16_e32 vcc, v15, v12
	v_bfi_b32 v12, s5, v12, v6
	v_perm_b32 v19, v15, v5, s4
	v_cndmask_b32_e32 v6, v6, v12, vcc
	v_max_u16_e32 v16, v18, v14
	v_cndmask_b32_e32 v5, v5, v19, vcc
	v_min_u16_e32 v19, v18, v14
	v_perm_b32 v12, v11, v13, s4
	v_cmp_lt_u16_e32 vcc, v15, v11
	v_perm_b32 v15, v18, v6, s4
	v_cmp_lt_u16_e64 s[0:1], v18, v14
	v_bfi_b32 v14, s5, v14, v7
	v_cndmask_b32_e32 v5, v5, v12, vcc
	v_cndmask_b32_e32 v12, v11, v13, vcc
	;; [unrolled: 1-line block ×3, first 2 shown]
	v_perm_b32 v13, v10, v19, s4
	v_cndmask_b32_e64 v6, v6, v15, s[0:1]
	v_cndmask_b32_e64 v7, v7, v14, s[0:1]
	v_min_u16_e32 v14, v19, v10
	v_cmp_lt_u16_e32 vcc, v19, v10
	v_max_u16_e32 v15, v19, v10
	v_perm_b32 v10, v14, v5, s4
	v_min_u16_e32 v19, v14, v11
	v_cndmask_b32_e32 v6, v6, v13, vcc
	v_cmp_lt_u16_e32 vcc, v14, v11
	v_max_u16_e32 v18, v8, v17
	v_cndmask_b32_e32 v5, v5, v10, vcc
	v_perm_b32 v10, v12, v19, s4
	v_cmp_lt_u16_e64 s[0:1], v19, v12
	v_min_u16_e32 v13, v19, v12
	v_max_u16_e32 v12, v19, v12
	v_perm_b32 v19, v8, v7, s4
	v_cmp_lt_u16_e64 s[2:3], v8, v17
	v_min_u16_e32 v8, v8, v17
	v_cndmask_b32_e64 v7, v7, v19, s[2:3]
	v_perm_b32 v19, v16, v8, s4
	v_cndmask_b32_e64 v9, v9, v17, s[2:3]
	v_cmp_lt_u16_e64 s[2:3], v8, v16
	v_max_u16_e32 v14, v14, v11
	v_bfi_b32 v11, s5, v11, v6
	v_max_u16_e32 v17, v8, v16
	v_min_u16_e32 v8, v8, v16
	v_cndmask_b32_e64 v7, v7, v19, s[2:3]
	v_cndmask_b32_e32 v6, v6, v11, vcc
	v_cndmask_b32_e64 v5, v5, v10, s[0:1]
	v_max_u16_e32 v10, v8, v15
	v_min_u16_e32 v19, v8, v15
	v_perm_b32 v11, v8, v6, s4
	v_cmp_lt_u16_e32 vcc, v8, v15
	v_bfi_b32 v15, s5, v15, v7
	v_perm_b32 v8, v14, v19, s4
	v_cndmask_b32_e32 v6, v6, v11, vcc
	v_cndmask_b32_e32 v7, v7, v15, vcc
	v_cmp_lt_u16_e32 vcc, v19, v14
	v_bfi_b32 v15, s5, v17, v9
	v_cndmask_b32_e32 v6, v6, v8, vcc
	v_perm_b32 v8, v18, v7, s4
	v_cmp_gt_u16_e32 vcc, v16, v18
	v_cndmask_b32_e32 v7, v7, v8, vcc
	v_cndmask_b32_e32 v8, v9, v15, vcc
	;; [unrolled: 1-line block ×3, first 2 shown]
	v_max_u16_e32 v11, v19, v14
	v_cndmask_b32_e32 v9, v18, v17, vcc
	v_min_u16_e32 v14, v19, v14
	v_perm_b32 v16, v10, v15, s4
	v_cmp_lt_u16_e32 vcc, v15, v10
	v_cndmask_b32_e32 v7, v7, v16, vcc
	v_max_u16_e32 v16, v15, v10
	v_min_u16_e32 v10, v15, v10
	v_perm_b32 v15, v14, v5, s4
	v_bfi_b32 v17, s5, v12, v6
	v_cmp_lt_u16_e32 vcc, v14, v12
	v_cndmask_b32_e32 v6, v6, v17, vcc
	v_cndmask_b32_e32 v5, v5, v15, vcc
	v_bfi_b32 v18, s5, v11, v7
	v_cmp_lt_u16_e32 vcc, v10, v11
	v_perm_b32 v17, v10, v6, s4
	v_cndmask_b32_e32 v7, v7, v18, vcc
	v_max_u16_e32 v15, v14, v12
	v_min_u16_e32 v12, v14, v12
	v_cndmask_b32_e32 v6, v6, v17, vcc
	v_max_u16_e32 v17, v10, v11
	v_min_u16_e32 v10, v10, v11
	v_perm_b32 v11, v9, v7, s4
	v_bfi_b32 v18, s5, v16, v8
	v_cmp_lt_u16_e32 vcc, v9, v16
	v_cndmask_b32_e32 v7, v7, v11, vcc
	v_cndmask_b32_e32 v8, v8, v18, vcc
	v_perm_b32 v11, v13, v12, s4
	v_cmp_lt_u16_e32 vcc, v14, v13
	v_min_u16_e32 v9, v9, v16
	v_cndmask_b32_e32 v5, v5, v11, vcc
	v_perm_b32 v11, v15, v10, s4
	v_cmp_lt_u16_e32 vcc, v10, v15
	v_cndmask_b32_e32 v6, v6, v11, vcc
	v_perm_b32 v10, v17, v9, s4
	v_cmp_lt_u16_e32 vcc, v9, v17
	v_cndmask_b32_e32 v7, v7, v10, vcc
	ds_write_b96 v4, v[5:7]
	ds_write_b16 v4, v8 offset:12
	v_and_b32_e32 v5, 0xfe, v0
	v_mul_u32_u24_e32 v6, 7, v5
	v_and_b32_e32 v5, 1, v0
	v_min_u32_e32 v8, 0x700, v6
	v_min_u32_e32 v7, 0x6f9, v6
	;; [unrolled: 1-line block ×3, first 2 shown]
	v_cmp_eq_u32_e32 vcc, 1, v5
	v_add_u32_e32 v5, 7, v7
	v_add_u32_e32 v6, 14, v6
	v_cndmask_b32_e64 v9, 0, 7, vcc
	v_sub_u32_e32 v10, v6, v5
	v_sub_u32_e32 v12, v5, v8
	;; [unrolled: 1-line block ×3, first 2 shown]
	v_cmp_ge_i32_e32 vcc, v9, v10
	v_cndmask_b32_e32 v10, 0, v13, vcc
	v_min_i32_e32 v12, v9, v12
	v_lshlrev_b32_e32 v11, 1, v8
	v_cmp_lt_i32_e32 vcc, v10, v12
	s_waitcnt lgkmcnt(0)
	s_barrier
	s_and_saveexec_b64 s[0:1], vcc
	s_cbranch_execz .LBB2_4
; %bb.1:
	v_lshlrev_b32_e32 v13, 1, v9
	v_lshl_add_u32 v13, v7, 1, v13
	s_mov_b64 s[2:3], 0
.LBB2_2:                                ; =>This Inner Loop Header: Depth=1
	v_sub_u32_e32 v14, v12, v10
	v_lshrrev_b32_e32 v14, 1, v14
	v_add_u32_e32 v14, v14, v10
	v_not_b32_e32 v16, v14
	v_lshl_add_u32 v15, v14, 1, v11
	v_lshl_add_u32 v16, v16, 1, v13
	ds_read_u16 v15, v15
	ds_read_u16 v16, v16 offset:14
	v_add_u32_e32 v17, 1, v14
	s_waitcnt lgkmcnt(0)
	v_cmp_lt_u16_e32 vcc, v16, v15
	v_cndmask_b32_e32 v12, v12, v14, vcc
	v_cndmask_b32_e32 v10, v17, v10, vcc
	v_cmp_ge_i32_e32 vcc, v10, v12
	s_or_b64 s[2:3], vcc, s[2:3]
	s_andn2_b64 exec, exec, s[2:3]
	s_cbranch_execnz .LBB2_2
; %bb.3:
	s_or_b64 exec, exec, s[2:3]
.LBB2_4:
	s_or_b64 exec, exec, s[0:1]
	v_add_u32_e32 v7, v7, v9
	v_lshl_add_u32 v14, v10, 1, v11
	v_sub_u32_e32 v7, v7, v10
	v_add_u32_e32 v12, v10, v8
	v_lshlrev_b32_e32 v13, 1, v7
	ds_read_u16 v7, v14
	ds_read_u16 v8, v13 offset:14
	v_add_u32_e32 v9, v5, v9
	v_sub_u32_e32 v11, v9, v10
	v_cmp_le_i32_e64 s[0:1], v5, v12
	v_cmp_gt_i32_e32 vcc, v6, v11
	s_waitcnt lgkmcnt(0)
	v_cmp_lt_u16_e64 s[2:3], v8, v7
	s_or_b64 s[0:1], s[0:1], s[2:3]
	s_and_b64 vcc, vcc, s[0:1]
	s_xor_b64 s[0:1], vcc, -1
                                        ; implicit-def: $vgpr9
	s_and_saveexec_b64 s[2:3], s[0:1]
	s_xor_b64 s[0:1], exec, s[2:3]
; %bb.5:
	ds_read_u16 v9, v14 offset:2
                                        ; implicit-def: $vgpr13
; %bb.6:
	s_or_saveexec_b64 s[0:1], s[0:1]
	v_mov_b32_e32 v10, v8
	s_xor_b64 exec, exec, s[0:1]
	s_cbranch_execz .LBB2_8
; %bb.7:
	ds_read_u16 v10, v13 offset:16
	s_waitcnt lgkmcnt(1)
	v_mov_b32_e32 v9, v7
.LBB2_8:
	s_or_b64 exec, exec, s[0:1]
	v_add_u32_e32 v14, 1, v12
	v_add_u32_e32 v13, 1, v11
	v_cndmask_b32_e32 v14, v14, v12, vcc
	v_cndmask_b32_e32 v13, v11, v13, vcc
	v_cmp_ge_i32_e64 s[2:3], v14, v5
	s_waitcnt lgkmcnt(0)
	v_cmp_lt_u16_e64 s[4:5], v10, v9
	v_cmp_lt_i32_e64 s[0:1], v13, v6
	s_or_b64 s[2:3], s[2:3], s[4:5]
	s_and_b64 s[0:1], s[0:1], s[2:3]
	s_xor_b64 s[2:3], s[0:1], -1
                                        ; implicit-def: $vgpr11
	s_and_saveexec_b64 s[4:5], s[2:3]
	s_xor_b64 s[2:3], exec, s[4:5]
; %bb.9:
	v_lshlrev_b32_e32 v11, 1, v14
	ds_read_u16 v11, v11 offset:2
; %bb.10:
	s_or_saveexec_b64 s[2:3], s[2:3]
	v_mov_b32_e32 v12, v10
	s_xor_b64 exec, exec, s[2:3]
	s_cbranch_execz .LBB2_12
; %bb.11:
	s_waitcnt lgkmcnt(0)
	v_lshlrev_b32_e32 v11, 1, v13
	ds_read_u16 v12, v11 offset:2
	v_mov_b32_e32 v11, v9
.LBB2_12:
	s_or_b64 exec, exec, s[2:3]
	v_add_u32_e32 v16, 1, v14
	v_add_u32_e32 v15, 1, v13
	v_cndmask_b32_e64 v16, v16, v14, s[0:1]
	v_cndmask_b32_e64 v15, v13, v15, s[0:1]
	v_cmp_ge_i32_e64 s[4:5], v16, v5
	s_waitcnt lgkmcnt(0)
	v_cmp_lt_u16_e64 s[6:7], v12, v11
	v_cmp_lt_i32_e64 s[2:3], v15, v6
	s_or_b64 s[4:5], s[4:5], s[6:7]
	s_and_b64 s[2:3], s[2:3], s[4:5]
	s_xor_b64 s[4:5], s[2:3], -1
                                        ; implicit-def: $vgpr13
	s_and_saveexec_b64 s[6:7], s[4:5]
	s_xor_b64 s[4:5], exec, s[6:7]
; %bb.13:
	v_lshlrev_b32_e32 v13, 1, v16
	ds_read_u16 v13, v13 offset:2
; %bb.14:
	s_or_saveexec_b64 s[4:5], s[4:5]
	v_mov_b32_e32 v14, v12
	s_xor_b64 exec, exec, s[4:5]
	s_cbranch_execz .LBB2_16
; %bb.15:
	s_waitcnt lgkmcnt(0)
	v_lshlrev_b32_e32 v13, 1, v15
	ds_read_u16 v14, v13 offset:2
	v_mov_b32_e32 v13, v11
.LBB2_16:
	s_or_b64 exec, exec, s[4:5]
	v_add_u32_e32 v18, 1, v16
	v_add_u32_e32 v17, 1, v15
	v_cndmask_b32_e64 v18, v18, v16, s[2:3]
	v_cndmask_b32_e64 v17, v15, v17, s[2:3]
	v_cmp_ge_i32_e64 s[6:7], v18, v5
	s_waitcnt lgkmcnt(0)
	v_cmp_lt_u16_e64 s[8:9], v14, v13
	v_cmp_lt_i32_e64 s[4:5], v17, v6
	s_or_b64 s[6:7], s[6:7], s[8:9]
	s_and_b64 s[4:5], s[4:5], s[6:7]
	s_xor_b64 s[6:7], s[4:5], -1
                                        ; implicit-def: $vgpr15
	s_and_saveexec_b64 s[8:9], s[6:7]
	s_xor_b64 s[6:7], exec, s[8:9]
; %bb.17:
	v_lshlrev_b32_e32 v15, 1, v18
	ds_read_u16 v15, v15 offset:2
; %bb.18:
	s_or_saveexec_b64 s[6:7], s[6:7]
	v_mov_b32_e32 v16, v14
	s_xor_b64 exec, exec, s[6:7]
	s_cbranch_execz .LBB2_20
; %bb.19:
	s_waitcnt lgkmcnt(0)
	v_lshlrev_b32_e32 v15, 1, v17
	ds_read_u16 v16, v15 offset:2
	v_mov_b32_e32 v15, v13
.LBB2_20:
	s_or_b64 exec, exec, s[6:7]
	v_add_u32_e32 v20, 1, v18
	v_add_u32_e32 v19, 1, v17
	v_cndmask_b32_e64 v21, v20, v18, s[4:5]
	v_cndmask_b32_e64 v19, v17, v19, s[4:5]
	v_cmp_ge_i32_e64 s[8:9], v21, v5
	s_waitcnt lgkmcnt(0)
	v_cmp_lt_u16_e64 s[10:11], v16, v15
	v_cmp_lt_i32_e64 s[6:7], v19, v6
	s_or_b64 s[8:9], s[8:9], s[10:11]
	s_and_b64 s[6:7], s[6:7], s[8:9]
	s_xor_b64 s[8:9], s[6:7], -1
                                        ; implicit-def: $vgpr17
	s_and_saveexec_b64 s[10:11], s[8:9]
	s_xor_b64 s[8:9], exec, s[10:11]
; %bb.21:
	v_lshlrev_b32_e32 v17, 1, v21
	ds_read_u16 v17, v17 offset:2
; %bb.22:
	s_or_saveexec_b64 s[8:9], s[8:9]
	v_mov_b32_e32 v18, v16
	s_xor_b64 exec, exec, s[8:9]
	s_cbranch_execz .LBB2_24
; %bb.23:
	s_waitcnt lgkmcnt(0)
	v_lshlrev_b32_e32 v17, 1, v19
	ds_read_u16 v18, v17 offset:2
	v_mov_b32_e32 v17, v15
.LBB2_24:
	s_or_b64 exec, exec, s[8:9]
	v_add_u32_e32 v20, 1, v19
	v_add_u32_e32 v22, 1, v21
	v_cndmask_b32_e64 v20, v19, v20, s[6:7]
	v_cndmask_b32_e64 v19, v22, v21, s[6:7]
	v_cmp_ge_i32_e64 s[10:11], v19, v5
	s_waitcnt lgkmcnt(0)
	v_cmp_lt_u16_e64 s[12:13], v18, v17
	v_cmp_lt_i32_e64 s[8:9], v20, v6
	s_or_b64 s[10:11], s[10:11], s[12:13]
	s_and_b64 s[8:9], s[8:9], s[10:11]
	s_xor_b64 s[10:11], s[8:9], -1
                                        ; implicit-def: $vgpr21
	s_and_saveexec_b64 s[12:13], s[10:11]
	s_xor_b64 s[10:11], exec, s[12:13]
; %bb.25:
	v_lshlrev_b32_e32 v21, 1, v19
	ds_read_u16 v21, v21 offset:2
; %bb.26:
	s_or_saveexec_b64 s[10:11], s[10:11]
	v_mov_b32_e32 v22, v18
	s_xor_b64 exec, exec, s[10:11]
	s_cbranch_execz .LBB2_28
; %bb.27:
	s_waitcnt lgkmcnt(0)
	v_lshlrev_b32_e32 v21, 1, v20
	ds_read_u16 v22, v21 offset:2
	v_mov_b32_e32 v21, v17
.LBB2_28:
	s_or_b64 exec, exec, s[10:11]
	v_cndmask_b32_e64 v17, v17, v18, s[8:9]
	v_add_u32_e32 v18, 1, v20
	v_cndmask_b32_e64 v18, v20, v18, s[8:9]
	v_add_u32_e32 v20, 1, v19
	v_cndmask_b32_e64 v19, v20, v19, s[8:9]
	v_cndmask_b32_e64 v11, v11, v12, s[2:3]
	v_cndmask_b32_e64 v9, v9, v10, s[0:1]
	v_cmp_ge_i32_e64 s[0:1], v19, v5
	s_waitcnt lgkmcnt(0)
	v_cmp_lt_u16_e64 s[2:3], v22, v21
	v_cndmask_b32_e32 v8, v7, v8, vcc
	v_cmp_lt_i32_e32 vcc, v18, v6
	s_or_b64 s[0:1], s[0:1], s[2:3]
	v_cndmask_b32_e64 v15, v15, v16, s[6:7]
	v_cndmask_b32_e64 v13, v13, v14, s[4:5]
	s_and_b64 vcc, vcc, s[0:1]
	s_mov_b32 s0, 0x5040100
	v_perm_b32 v7, v17, v15, s0
	v_perm_b32 v6, v13, v11, s0
	;; [unrolled: 1-line block ×3, first 2 shown]
	v_cndmask_b32_e32 v10, v21, v22, vcc
	s_barrier
	ds_write_b96 v4, v[5:7]
	ds_write_b16 v4, v10 offset:12
	v_and_b32_e32 v5, 0xfc, v0
	v_mul_u32_u24_e32 v6, 7, v5
	v_and_b32_e32 v5, 3, v0
	v_min_u32_e32 v8, 0x700, v6
	v_min_u32_e32 v7, 0x6f2, v6
	;; [unrolled: 1-line block ×3, first 2 shown]
	v_mul_u32_u24_e32 v9, 7, v5
	v_add_u32_e32 v5, 14, v7
	v_add_u32_e32 v6, 28, v6
	v_sub_u32_e32 v10, v6, v5
	v_sub_u32_e32 v12, v5, v8
	;; [unrolled: 1-line block ×3, first 2 shown]
	v_cmp_ge_i32_e32 vcc, v9, v10
	v_cndmask_b32_e32 v10, 0, v13, vcc
	v_min_i32_e32 v12, v9, v12
	v_lshlrev_b32_e32 v11, 1, v8
	v_cmp_lt_i32_e32 vcc, v10, v12
	s_waitcnt lgkmcnt(0)
	s_barrier
	s_and_saveexec_b64 s[0:1], vcc
	s_cbranch_execz .LBB2_32
; %bb.29:
	v_lshlrev_b32_e32 v13, 1, v9
	v_lshl_add_u32 v13, v7, 1, v13
	s_mov_b64 s[2:3], 0
.LBB2_30:                               ; =>This Inner Loop Header: Depth=1
	v_sub_u32_e32 v14, v12, v10
	v_lshrrev_b32_e32 v14, 1, v14
	v_add_u32_e32 v14, v14, v10
	v_not_b32_e32 v16, v14
	v_lshl_add_u32 v15, v14, 1, v11
	v_lshl_add_u32 v16, v16, 1, v13
	ds_read_u16 v15, v15
	ds_read_u16 v16, v16 offset:28
	v_add_u32_e32 v17, 1, v14
	s_waitcnt lgkmcnt(0)
	v_cmp_lt_u16_e32 vcc, v16, v15
	v_cndmask_b32_e32 v12, v12, v14, vcc
	v_cndmask_b32_e32 v10, v17, v10, vcc
	v_cmp_ge_i32_e32 vcc, v10, v12
	s_or_b64 s[2:3], vcc, s[2:3]
	s_andn2_b64 exec, exec, s[2:3]
	s_cbranch_execnz .LBB2_30
; %bb.31:
	s_or_b64 exec, exec, s[2:3]
.LBB2_32:
	s_or_b64 exec, exec, s[0:1]
	v_add_u32_e32 v7, v7, v9
	v_lshl_add_u32 v14, v10, 1, v11
	v_sub_u32_e32 v7, v7, v10
	v_add_u32_e32 v12, v10, v8
	v_lshlrev_b32_e32 v13, 1, v7
	ds_read_u16 v7, v14
	ds_read_u16 v8, v13 offset:28
	v_add_u32_e32 v9, v5, v9
	v_sub_u32_e32 v11, v9, v10
	v_cmp_le_i32_e64 s[0:1], v5, v12
	v_cmp_gt_i32_e32 vcc, v6, v11
	s_waitcnt lgkmcnt(0)
	v_cmp_lt_u16_e64 s[2:3], v8, v7
	s_or_b64 s[0:1], s[0:1], s[2:3]
	s_and_b64 vcc, vcc, s[0:1]
	s_xor_b64 s[0:1], vcc, -1
                                        ; implicit-def: $vgpr9
	s_and_saveexec_b64 s[2:3], s[0:1]
	s_xor_b64 s[0:1], exec, s[2:3]
; %bb.33:
	ds_read_u16 v9, v14 offset:2
                                        ; implicit-def: $vgpr13
; %bb.34:
	s_or_saveexec_b64 s[0:1], s[0:1]
	v_mov_b32_e32 v10, v8
	s_xor_b64 exec, exec, s[0:1]
	s_cbranch_execz .LBB2_36
; %bb.35:
	ds_read_u16 v10, v13 offset:30
	s_waitcnt lgkmcnt(1)
	v_mov_b32_e32 v9, v7
.LBB2_36:
	s_or_b64 exec, exec, s[0:1]
	v_add_u32_e32 v14, 1, v12
	v_add_u32_e32 v13, 1, v11
	v_cndmask_b32_e32 v14, v14, v12, vcc
	v_cndmask_b32_e32 v13, v11, v13, vcc
	v_cmp_ge_i32_e64 s[2:3], v14, v5
	s_waitcnt lgkmcnt(0)
	v_cmp_lt_u16_e64 s[4:5], v10, v9
	v_cmp_lt_i32_e64 s[0:1], v13, v6
	s_or_b64 s[2:3], s[2:3], s[4:5]
	s_and_b64 s[0:1], s[0:1], s[2:3]
	s_xor_b64 s[2:3], s[0:1], -1
                                        ; implicit-def: $vgpr11
	s_and_saveexec_b64 s[4:5], s[2:3]
	s_xor_b64 s[2:3], exec, s[4:5]
; %bb.37:
	v_lshlrev_b32_e32 v11, 1, v14
	ds_read_u16 v11, v11 offset:2
; %bb.38:
	s_or_saveexec_b64 s[2:3], s[2:3]
	v_mov_b32_e32 v12, v10
	s_xor_b64 exec, exec, s[2:3]
	s_cbranch_execz .LBB2_40
; %bb.39:
	s_waitcnt lgkmcnt(0)
	v_lshlrev_b32_e32 v11, 1, v13
	ds_read_u16 v12, v11 offset:2
	v_mov_b32_e32 v11, v9
.LBB2_40:
	s_or_b64 exec, exec, s[2:3]
	v_add_u32_e32 v16, 1, v14
	v_add_u32_e32 v15, 1, v13
	v_cndmask_b32_e64 v16, v16, v14, s[0:1]
	v_cndmask_b32_e64 v15, v13, v15, s[0:1]
	v_cmp_ge_i32_e64 s[4:5], v16, v5
	s_waitcnt lgkmcnt(0)
	v_cmp_lt_u16_e64 s[6:7], v12, v11
	v_cmp_lt_i32_e64 s[2:3], v15, v6
	s_or_b64 s[4:5], s[4:5], s[6:7]
	s_and_b64 s[2:3], s[2:3], s[4:5]
	s_xor_b64 s[4:5], s[2:3], -1
                                        ; implicit-def: $vgpr13
	s_and_saveexec_b64 s[6:7], s[4:5]
	s_xor_b64 s[4:5], exec, s[6:7]
; %bb.41:
	v_lshlrev_b32_e32 v13, 1, v16
	ds_read_u16 v13, v13 offset:2
; %bb.42:
	s_or_saveexec_b64 s[4:5], s[4:5]
	v_mov_b32_e32 v14, v12
	s_xor_b64 exec, exec, s[4:5]
	s_cbranch_execz .LBB2_44
; %bb.43:
	s_waitcnt lgkmcnt(0)
	v_lshlrev_b32_e32 v13, 1, v15
	ds_read_u16 v14, v13 offset:2
	v_mov_b32_e32 v13, v11
.LBB2_44:
	s_or_b64 exec, exec, s[4:5]
	v_add_u32_e32 v18, 1, v16
	v_add_u32_e32 v17, 1, v15
	v_cndmask_b32_e64 v18, v18, v16, s[2:3]
	v_cndmask_b32_e64 v17, v15, v17, s[2:3]
	v_cmp_ge_i32_e64 s[6:7], v18, v5
	s_waitcnt lgkmcnt(0)
	v_cmp_lt_u16_e64 s[8:9], v14, v13
	v_cmp_lt_i32_e64 s[4:5], v17, v6
	s_or_b64 s[6:7], s[6:7], s[8:9]
	s_and_b64 s[4:5], s[4:5], s[6:7]
	s_xor_b64 s[6:7], s[4:5], -1
                                        ; implicit-def: $vgpr15
	s_and_saveexec_b64 s[8:9], s[6:7]
	s_xor_b64 s[6:7], exec, s[8:9]
; %bb.45:
	v_lshlrev_b32_e32 v15, 1, v18
	ds_read_u16 v15, v15 offset:2
; %bb.46:
	s_or_saveexec_b64 s[6:7], s[6:7]
	v_mov_b32_e32 v16, v14
	s_xor_b64 exec, exec, s[6:7]
	s_cbranch_execz .LBB2_48
; %bb.47:
	s_waitcnt lgkmcnt(0)
	v_lshlrev_b32_e32 v15, 1, v17
	ds_read_u16 v16, v15 offset:2
	v_mov_b32_e32 v15, v13
.LBB2_48:
	s_or_b64 exec, exec, s[6:7]
	v_add_u32_e32 v20, 1, v18
	v_add_u32_e32 v19, 1, v17
	v_cndmask_b32_e64 v21, v20, v18, s[4:5]
	v_cndmask_b32_e64 v19, v17, v19, s[4:5]
	v_cmp_ge_i32_e64 s[8:9], v21, v5
	s_waitcnt lgkmcnt(0)
	v_cmp_lt_u16_e64 s[10:11], v16, v15
	v_cmp_lt_i32_e64 s[6:7], v19, v6
	s_or_b64 s[8:9], s[8:9], s[10:11]
	s_and_b64 s[6:7], s[6:7], s[8:9]
	s_xor_b64 s[8:9], s[6:7], -1
                                        ; implicit-def: $vgpr17
	s_and_saveexec_b64 s[10:11], s[8:9]
	s_xor_b64 s[8:9], exec, s[10:11]
; %bb.49:
	v_lshlrev_b32_e32 v17, 1, v21
	ds_read_u16 v17, v17 offset:2
; %bb.50:
	s_or_saveexec_b64 s[8:9], s[8:9]
	v_mov_b32_e32 v18, v16
	s_xor_b64 exec, exec, s[8:9]
	s_cbranch_execz .LBB2_52
; %bb.51:
	s_waitcnt lgkmcnt(0)
	v_lshlrev_b32_e32 v17, 1, v19
	ds_read_u16 v18, v17 offset:2
	v_mov_b32_e32 v17, v15
.LBB2_52:
	s_or_b64 exec, exec, s[8:9]
	v_add_u32_e32 v20, 1, v19
	v_add_u32_e32 v22, 1, v21
	v_cndmask_b32_e64 v20, v19, v20, s[6:7]
	v_cndmask_b32_e64 v19, v22, v21, s[6:7]
	v_cmp_ge_i32_e64 s[10:11], v19, v5
	s_waitcnt lgkmcnt(0)
	v_cmp_lt_u16_e64 s[12:13], v18, v17
	v_cmp_lt_i32_e64 s[8:9], v20, v6
	s_or_b64 s[10:11], s[10:11], s[12:13]
	s_and_b64 s[8:9], s[8:9], s[10:11]
	s_xor_b64 s[10:11], s[8:9], -1
                                        ; implicit-def: $vgpr21
	s_and_saveexec_b64 s[12:13], s[10:11]
	s_xor_b64 s[10:11], exec, s[12:13]
; %bb.53:
	v_lshlrev_b32_e32 v21, 1, v19
	ds_read_u16 v21, v21 offset:2
; %bb.54:
	s_or_saveexec_b64 s[10:11], s[10:11]
	v_mov_b32_e32 v22, v18
	s_xor_b64 exec, exec, s[10:11]
	s_cbranch_execz .LBB2_56
; %bb.55:
	s_waitcnt lgkmcnt(0)
	v_lshlrev_b32_e32 v21, 1, v20
	ds_read_u16 v22, v21 offset:2
	v_mov_b32_e32 v21, v17
.LBB2_56:
	s_or_b64 exec, exec, s[10:11]
	v_cndmask_b32_e64 v17, v17, v18, s[8:9]
	v_add_u32_e32 v18, 1, v20
	v_cndmask_b32_e64 v18, v20, v18, s[8:9]
	v_add_u32_e32 v20, 1, v19
	v_cndmask_b32_e64 v19, v20, v19, s[8:9]
	v_cndmask_b32_e64 v11, v11, v12, s[2:3]
	;; [unrolled: 1-line block ×3, first 2 shown]
	v_cmp_ge_i32_e64 s[0:1], v19, v5
	s_waitcnt lgkmcnt(0)
	v_cmp_lt_u16_e64 s[2:3], v22, v21
	v_cndmask_b32_e32 v8, v7, v8, vcc
	v_cmp_lt_i32_e32 vcc, v18, v6
	s_or_b64 s[0:1], s[0:1], s[2:3]
	v_cndmask_b32_e64 v15, v15, v16, s[6:7]
	v_cndmask_b32_e64 v13, v13, v14, s[4:5]
	s_and_b64 vcc, vcc, s[0:1]
	s_mov_b32 s0, 0x5040100
	v_perm_b32 v7, v17, v15, s0
	v_perm_b32 v6, v13, v11, s0
	;; [unrolled: 1-line block ×3, first 2 shown]
	v_cndmask_b32_e32 v10, v21, v22, vcc
	s_barrier
	ds_write_b96 v4, v[5:7]
	ds_write_b16 v4, v10 offset:12
	v_and_b32_e32 v5, 0xf8, v0
	v_mul_u32_u24_e32 v6, 7, v5
	v_and_b32_e32 v5, 7, v0
	v_min_u32_e32 v8, 0x700, v6
	v_min_u32_e32 v7, 0x6e4, v6
	;; [unrolled: 1-line block ×3, first 2 shown]
	v_mul_u32_u24_e32 v9, 7, v5
	v_add_u32_e32 v5, 28, v7
	v_add_u32_e32 v6, 56, v6
	v_sub_u32_e32 v10, v6, v5
	v_sub_u32_e32 v12, v5, v8
	;; [unrolled: 1-line block ×3, first 2 shown]
	v_cmp_ge_i32_e32 vcc, v9, v10
	v_cndmask_b32_e32 v10, 0, v13, vcc
	v_min_i32_e32 v12, v9, v12
	v_lshlrev_b32_e32 v11, 1, v8
	v_cmp_lt_i32_e32 vcc, v10, v12
	s_waitcnt lgkmcnt(0)
	s_barrier
	s_and_saveexec_b64 s[0:1], vcc
	s_cbranch_execz .LBB2_60
; %bb.57:
	v_lshlrev_b32_e32 v13, 1, v9
	v_lshl_add_u32 v13, v7, 1, v13
	s_mov_b64 s[2:3], 0
.LBB2_58:                               ; =>This Inner Loop Header: Depth=1
	v_sub_u32_e32 v14, v12, v10
	v_lshrrev_b32_e32 v14, 1, v14
	v_add_u32_e32 v14, v14, v10
	v_not_b32_e32 v16, v14
	v_lshl_add_u32 v15, v14, 1, v11
	v_lshl_add_u32 v16, v16, 1, v13
	ds_read_u16 v15, v15
	ds_read_u16 v16, v16 offset:56
	v_add_u32_e32 v17, 1, v14
	s_waitcnt lgkmcnt(0)
	v_cmp_lt_u16_e32 vcc, v16, v15
	v_cndmask_b32_e32 v12, v12, v14, vcc
	v_cndmask_b32_e32 v10, v17, v10, vcc
	v_cmp_ge_i32_e32 vcc, v10, v12
	s_or_b64 s[2:3], vcc, s[2:3]
	s_andn2_b64 exec, exec, s[2:3]
	s_cbranch_execnz .LBB2_58
; %bb.59:
	s_or_b64 exec, exec, s[2:3]
.LBB2_60:
	s_or_b64 exec, exec, s[0:1]
	v_add_u32_e32 v7, v7, v9
	v_lshl_add_u32 v14, v10, 1, v11
	v_sub_u32_e32 v7, v7, v10
	v_add_u32_e32 v12, v10, v8
	v_lshlrev_b32_e32 v13, 1, v7
	ds_read_u16 v7, v14
	ds_read_u16 v8, v13 offset:56
	v_add_u32_e32 v9, v5, v9
	v_sub_u32_e32 v11, v9, v10
	v_cmp_le_i32_e64 s[0:1], v5, v12
	v_cmp_gt_i32_e32 vcc, v6, v11
	s_waitcnt lgkmcnt(0)
	v_cmp_lt_u16_e64 s[2:3], v8, v7
	s_or_b64 s[0:1], s[0:1], s[2:3]
	s_and_b64 vcc, vcc, s[0:1]
	s_xor_b64 s[0:1], vcc, -1
                                        ; implicit-def: $vgpr9
	s_and_saveexec_b64 s[2:3], s[0:1]
	s_xor_b64 s[0:1], exec, s[2:3]
; %bb.61:
	ds_read_u16 v9, v14 offset:2
                                        ; implicit-def: $vgpr13
; %bb.62:
	s_or_saveexec_b64 s[0:1], s[0:1]
	v_mov_b32_e32 v10, v8
	s_xor_b64 exec, exec, s[0:1]
	s_cbranch_execz .LBB2_64
; %bb.63:
	ds_read_u16 v10, v13 offset:58
	s_waitcnt lgkmcnt(1)
	v_mov_b32_e32 v9, v7
.LBB2_64:
	s_or_b64 exec, exec, s[0:1]
	v_add_u32_e32 v14, 1, v12
	v_add_u32_e32 v13, 1, v11
	v_cndmask_b32_e32 v14, v14, v12, vcc
	v_cndmask_b32_e32 v13, v11, v13, vcc
	v_cmp_ge_i32_e64 s[2:3], v14, v5
	s_waitcnt lgkmcnt(0)
	v_cmp_lt_u16_e64 s[4:5], v10, v9
	v_cmp_lt_i32_e64 s[0:1], v13, v6
	s_or_b64 s[2:3], s[2:3], s[4:5]
	s_and_b64 s[0:1], s[0:1], s[2:3]
	s_xor_b64 s[2:3], s[0:1], -1
                                        ; implicit-def: $vgpr11
	s_and_saveexec_b64 s[4:5], s[2:3]
	s_xor_b64 s[2:3], exec, s[4:5]
; %bb.65:
	v_lshlrev_b32_e32 v11, 1, v14
	ds_read_u16 v11, v11 offset:2
; %bb.66:
	s_or_saveexec_b64 s[2:3], s[2:3]
	v_mov_b32_e32 v12, v10
	s_xor_b64 exec, exec, s[2:3]
	s_cbranch_execz .LBB2_68
; %bb.67:
	s_waitcnt lgkmcnt(0)
	v_lshlrev_b32_e32 v11, 1, v13
	ds_read_u16 v12, v11 offset:2
	v_mov_b32_e32 v11, v9
.LBB2_68:
	s_or_b64 exec, exec, s[2:3]
	v_add_u32_e32 v16, 1, v14
	v_add_u32_e32 v15, 1, v13
	v_cndmask_b32_e64 v16, v16, v14, s[0:1]
	v_cndmask_b32_e64 v15, v13, v15, s[0:1]
	v_cmp_ge_i32_e64 s[4:5], v16, v5
	s_waitcnt lgkmcnt(0)
	v_cmp_lt_u16_e64 s[6:7], v12, v11
	v_cmp_lt_i32_e64 s[2:3], v15, v6
	s_or_b64 s[4:5], s[4:5], s[6:7]
	s_and_b64 s[2:3], s[2:3], s[4:5]
	s_xor_b64 s[4:5], s[2:3], -1
                                        ; implicit-def: $vgpr13
	s_and_saveexec_b64 s[6:7], s[4:5]
	s_xor_b64 s[4:5], exec, s[6:7]
; %bb.69:
	v_lshlrev_b32_e32 v13, 1, v16
	ds_read_u16 v13, v13 offset:2
; %bb.70:
	s_or_saveexec_b64 s[4:5], s[4:5]
	v_mov_b32_e32 v14, v12
	s_xor_b64 exec, exec, s[4:5]
	s_cbranch_execz .LBB2_72
; %bb.71:
	s_waitcnt lgkmcnt(0)
	v_lshlrev_b32_e32 v13, 1, v15
	ds_read_u16 v14, v13 offset:2
	v_mov_b32_e32 v13, v11
.LBB2_72:
	s_or_b64 exec, exec, s[4:5]
	v_add_u32_e32 v18, 1, v16
	v_add_u32_e32 v17, 1, v15
	v_cndmask_b32_e64 v18, v18, v16, s[2:3]
	v_cndmask_b32_e64 v17, v15, v17, s[2:3]
	v_cmp_ge_i32_e64 s[6:7], v18, v5
	s_waitcnt lgkmcnt(0)
	v_cmp_lt_u16_e64 s[8:9], v14, v13
	v_cmp_lt_i32_e64 s[4:5], v17, v6
	s_or_b64 s[6:7], s[6:7], s[8:9]
	s_and_b64 s[4:5], s[4:5], s[6:7]
	s_xor_b64 s[6:7], s[4:5], -1
                                        ; implicit-def: $vgpr15
	s_and_saveexec_b64 s[8:9], s[6:7]
	s_xor_b64 s[6:7], exec, s[8:9]
; %bb.73:
	v_lshlrev_b32_e32 v15, 1, v18
	ds_read_u16 v15, v15 offset:2
; %bb.74:
	s_or_saveexec_b64 s[6:7], s[6:7]
	v_mov_b32_e32 v16, v14
	s_xor_b64 exec, exec, s[6:7]
	s_cbranch_execz .LBB2_76
; %bb.75:
	s_waitcnt lgkmcnt(0)
	v_lshlrev_b32_e32 v15, 1, v17
	ds_read_u16 v16, v15 offset:2
	v_mov_b32_e32 v15, v13
.LBB2_76:
	s_or_b64 exec, exec, s[6:7]
	v_add_u32_e32 v20, 1, v18
	v_add_u32_e32 v19, 1, v17
	v_cndmask_b32_e64 v21, v20, v18, s[4:5]
	v_cndmask_b32_e64 v19, v17, v19, s[4:5]
	v_cmp_ge_i32_e64 s[8:9], v21, v5
	s_waitcnt lgkmcnt(0)
	v_cmp_lt_u16_e64 s[10:11], v16, v15
	v_cmp_lt_i32_e64 s[6:7], v19, v6
	s_or_b64 s[8:9], s[8:9], s[10:11]
	s_and_b64 s[6:7], s[6:7], s[8:9]
	s_xor_b64 s[8:9], s[6:7], -1
                                        ; implicit-def: $vgpr17
	s_and_saveexec_b64 s[10:11], s[8:9]
	s_xor_b64 s[8:9], exec, s[10:11]
; %bb.77:
	v_lshlrev_b32_e32 v17, 1, v21
	ds_read_u16 v17, v17 offset:2
; %bb.78:
	s_or_saveexec_b64 s[8:9], s[8:9]
	v_mov_b32_e32 v18, v16
	s_xor_b64 exec, exec, s[8:9]
	s_cbranch_execz .LBB2_80
; %bb.79:
	s_waitcnt lgkmcnt(0)
	v_lshlrev_b32_e32 v17, 1, v19
	ds_read_u16 v18, v17 offset:2
	v_mov_b32_e32 v17, v15
.LBB2_80:
	s_or_b64 exec, exec, s[8:9]
	v_add_u32_e32 v20, 1, v19
	v_add_u32_e32 v22, 1, v21
	v_cndmask_b32_e64 v20, v19, v20, s[6:7]
	v_cndmask_b32_e64 v19, v22, v21, s[6:7]
	v_cmp_ge_i32_e64 s[10:11], v19, v5
	s_waitcnt lgkmcnt(0)
	v_cmp_lt_u16_e64 s[12:13], v18, v17
	v_cmp_lt_i32_e64 s[8:9], v20, v6
	s_or_b64 s[10:11], s[10:11], s[12:13]
	s_and_b64 s[8:9], s[8:9], s[10:11]
	s_xor_b64 s[10:11], s[8:9], -1
                                        ; implicit-def: $vgpr21
	s_and_saveexec_b64 s[12:13], s[10:11]
	s_xor_b64 s[10:11], exec, s[12:13]
; %bb.81:
	v_lshlrev_b32_e32 v21, 1, v19
	ds_read_u16 v21, v21 offset:2
; %bb.82:
	s_or_saveexec_b64 s[10:11], s[10:11]
	v_mov_b32_e32 v22, v18
	s_xor_b64 exec, exec, s[10:11]
	s_cbranch_execz .LBB2_84
; %bb.83:
	s_waitcnt lgkmcnt(0)
	v_lshlrev_b32_e32 v21, 1, v20
	ds_read_u16 v22, v21 offset:2
	v_mov_b32_e32 v21, v17
.LBB2_84:
	s_or_b64 exec, exec, s[10:11]
	v_cndmask_b32_e64 v17, v17, v18, s[8:9]
	v_add_u32_e32 v18, 1, v20
	v_cndmask_b32_e64 v18, v20, v18, s[8:9]
	v_add_u32_e32 v20, 1, v19
	v_cndmask_b32_e64 v19, v20, v19, s[8:9]
	v_cndmask_b32_e64 v11, v11, v12, s[2:3]
	;; [unrolled: 1-line block ×3, first 2 shown]
	v_cmp_ge_i32_e64 s[0:1], v19, v5
	s_waitcnt lgkmcnt(0)
	v_cmp_lt_u16_e64 s[2:3], v22, v21
	v_cndmask_b32_e32 v8, v7, v8, vcc
	v_cmp_lt_i32_e32 vcc, v18, v6
	s_or_b64 s[0:1], s[0:1], s[2:3]
	v_cndmask_b32_e64 v15, v15, v16, s[6:7]
	v_cndmask_b32_e64 v13, v13, v14, s[4:5]
	s_and_b64 vcc, vcc, s[0:1]
	s_mov_b32 s0, 0x5040100
	v_perm_b32 v7, v17, v15, s0
	v_perm_b32 v6, v13, v11, s0
	;; [unrolled: 1-line block ×3, first 2 shown]
	v_cndmask_b32_e32 v10, v21, v22, vcc
	s_barrier
	ds_write_b96 v4, v[5:7]
	ds_write_b16 v4, v10 offset:12
	v_and_b32_e32 v5, 0xf0, v0
	v_mul_u32_u24_e32 v6, 7, v5
	v_and_b32_e32 v5, 15, v0
	v_min_u32_e32 v8, 0x700, v6
	v_min_u32_e32 v7, 0x6c8, v6
	;; [unrolled: 1-line block ×3, first 2 shown]
	v_mul_u32_u24_e32 v9, 7, v5
	v_add_u32_e32 v5, 56, v7
	v_add_u32_e32 v6, 0x70, v6
	v_sub_u32_e32 v10, v6, v5
	v_sub_u32_e32 v12, v5, v8
	v_sub_u32_e32 v13, v9, v10
	v_cmp_ge_i32_e32 vcc, v9, v10
	v_cndmask_b32_e32 v10, 0, v13, vcc
	v_min_i32_e32 v12, v9, v12
	v_lshlrev_b32_e32 v11, 1, v8
	v_cmp_lt_i32_e32 vcc, v10, v12
	s_waitcnt lgkmcnt(0)
	s_barrier
	s_and_saveexec_b64 s[0:1], vcc
	s_cbranch_execz .LBB2_88
; %bb.85:
	v_lshlrev_b32_e32 v13, 1, v9
	v_lshl_add_u32 v13, v7, 1, v13
	s_mov_b64 s[2:3], 0
.LBB2_86:                               ; =>This Inner Loop Header: Depth=1
	v_sub_u32_e32 v14, v12, v10
	v_lshrrev_b32_e32 v14, 1, v14
	v_add_u32_e32 v14, v14, v10
	v_not_b32_e32 v16, v14
	v_lshl_add_u32 v15, v14, 1, v11
	v_lshl_add_u32 v16, v16, 1, v13
	ds_read_u16 v15, v15
	ds_read_u16 v16, v16 offset:112
	v_add_u32_e32 v17, 1, v14
	s_waitcnt lgkmcnt(0)
	v_cmp_lt_u16_e32 vcc, v16, v15
	v_cndmask_b32_e32 v12, v12, v14, vcc
	v_cndmask_b32_e32 v10, v17, v10, vcc
	v_cmp_ge_i32_e32 vcc, v10, v12
	s_or_b64 s[2:3], vcc, s[2:3]
	s_andn2_b64 exec, exec, s[2:3]
	s_cbranch_execnz .LBB2_86
; %bb.87:
	s_or_b64 exec, exec, s[2:3]
.LBB2_88:
	s_or_b64 exec, exec, s[0:1]
	v_add_u32_e32 v7, v7, v9
	v_lshl_add_u32 v14, v10, 1, v11
	v_sub_u32_e32 v7, v7, v10
	v_add_u32_e32 v12, v10, v8
	v_lshlrev_b32_e32 v13, 1, v7
	ds_read_u16 v7, v14
	ds_read_u16 v8, v13 offset:112
	v_add_u32_e32 v9, v5, v9
	v_sub_u32_e32 v11, v9, v10
	v_cmp_le_i32_e64 s[0:1], v5, v12
	v_cmp_gt_i32_e32 vcc, v6, v11
	s_waitcnt lgkmcnt(0)
	v_cmp_lt_u16_e64 s[2:3], v8, v7
	s_or_b64 s[0:1], s[0:1], s[2:3]
	s_and_b64 vcc, vcc, s[0:1]
	s_xor_b64 s[0:1], vcc, -1
                                        ; implicit-def: $vgpr9
	s_and_saveexec_b64 s[2:3], s[0:1]
	s_xor_b64 s[0:1], exec, s[2:3]
; %bb.89:
	ds_read_u16 v9, v14 offset:2
                                        ; implicit-def: $vgpr13
; %bb.90:
	s_or_saveexec_b64 s[0:1], s[0:1]
	v_mov_b32_e32 v10, v8
	s_xor_b64 exec, exec, s[0:1]
	s_cbranch_execz .LBB2_92
; %bb.91:
	ds_read_u16 v10, v13 offset:114
	s_waitcnt lgkmcnt(1)
	v_mov_b32_e32 v9, v7
.LBB2_92:
	s_or_b64 exec, exec, s[0:1]
	v_add_u32_e32 v14, 1, v12
	v_add_u32_e32 v13, 1, v11
	v_cndmask_b32_e32 v14, v14, v12, vcc
	v_cndmask_b32_e32 v13, v11, v13, vcc
	v_cmp_ge_i32_e64 s[2:3], v14, v5
	s_waitcnt lgkmcnt(0)
	v_cmp_lt_u16_e64 s[4:5], v10, v9
	v_cmp_lt_i32_e64 s[0:1], v13, v6
	s_or_b64 s[2:3], s[2:3], s[4:5]
	s_and_b64 s[0:1], s[0:1], s[2:3]
	s_xor_b64 s[2:3], s[0:1], -1
                                        ; implicit-def: $vgpr11
	s_and_saveexec_b64 s[4:5], s[2:3]
	s_xor_b64 s[2:3], exec, s[4:5]
; %bb.93:
	v_lshlrev_b32_e32 v11, 1, v14
	ds_read_u16 v11, v11 offset:2
; %bb.94:
	s_or_saveexec_b64 s[2:3], s[2:3]
	v_mov_b32_e32 v12, v10
	s_xor_b64 exec, exec, s[2:3]
	s_cbranch_execz .LBB2_96
; %bb.95:
	s_waitcnt lgkmcnt(0)
	v_lshlrev_b32_e32 v11, 1, v13
	ds_read_u16 v12, v11 offset:2
	v_mov_b32_e32 v11, v9
.LBB2_96:
	s_or_b64 exec, exec, s[2:3]
	v_add_u32_e32 v16, 1, v14
	v_add_u32_e32 v15, 1, v13
	v_cndmask_b32_e64 v16, v16, v14, s[0:1]
	v_cndmask_b32_e64 v15, v13, v15, s[0:1]
	v_cmp_ge_i32_e64 s[4:5], v16, v5
	s_waitcnt lgkmcnt(0)
	v_cmp_lt_u16_e64 s[6:7], v12, v11
	v_cmp_lt_i32_e64 s[2:3], v15, v6
	s_or_b64 s[4:5], s[4:5], s[6:7]
	s_and_b64 s[2:3], s[2:3], s[4:5]
	s_xor_b64 s[4:5], s[2:3], -1
                                        ; implicit-def: $vgpr13
	s_and_saveexec_b64 s[6:7], s[4:5]
	s_xor_b64 s[4:5], exec, s[6:7]
; %bb.97:
	v_lshlrev_b32_e32 v13, 1, v16
	ds_read_u16 v13, v13 offset:2
; %bb.98:
	s_or_saveexec_b64 s[4:5], s[4:5]
	v_mov_b32_e32 v14, v12
	s_xor_b64 exec, exec, s[4:5]
	s_cbranch_execz .LBB2_100
; %bb.99:
	s_waitcnt lgkmcnt(0)
	v_lshlrev_b32_e32 v13, 1, v15
	ds_read_u16 v14, v13 offset:2
	v_mov_b32_e32 v13, v11
.LBB2_100:
	s_or_b64 exec, exec, s[4:5]
	v_add_u32_e32 v18, 1, v16
	v_add_u32_e32 v17, 1, v15
	v_cndmask_b32_e64 v18, v18, v16, s[2:3]
	v_cndmask_b32_e64 v17, v15, v17, s[2:3]
	v_cmp_ge_i32_e64 s[6:7], v18, v5
	s_waitcnt lgkmcnt(0)
	v_cmp_lt_u16_e64 s[8:9], v14, v13
	v_cmp_lt_i32_e64 s[4:5], v17, v6
	s_or_b64 s[6:7], s[6:7], s[8:9]
	s_and_b64 s[4:5], s[4:5], s[6:7]
	s_xor_b64 s[6:7], s[4:5], -1
                                        ; implicit-def: $vgpr15
	s_and_saveexec_b64 s[8:9], s[6:7]
	s_xor_b64 s[6:7], exec, s[8:9]
; %bb.101:
	v_lshlrev_b32_e32 v15, 1, v18
	ds_read_u16 v15, v15 offset:2
; %bb.102:
	s_or_saveexec_b64 s[6:7], s[6:7]
	v_mov_b32_e32 v16, v14
	s_xor_b64 exec, exec, s[6:7]
	s_cbranch_execz .LBB2_104
; %bb.103:
	s_waitcnt lgkmcnt(0)
	v_lshlrev_b32_e32 v15, 1, v17
	ds_read_u16 v16, v15 offset:2
	v_mov_b32_e32 v15, v13
.LBB2_104:
	s_or_b64 exec, exec, s[6:7]
	v_add_u32_e32 v20, 1, v18
	v_add_u32_e32 v19, 1, v17
	v_cndmask_b32_e64 v21, v20, v18, s[4:5]
	v_cndmask_b32_e64 v19, v17, v19, s[4:5]
	v_cmp_ge_i32_e64 s[8:9], v21, v5
	s_waitcnt lgkmcnt(0)
	v_cmp_lt_u16_e64 s[10:11], v16, v15
	v_cmp_lt_i32_e64 s[6:7], v19, v6
	s_or_b64 s[8:9], s[8:9], s[10:11]
	s_and_b64 s[6:7], s[6:7], s[8:9]
	s_xor_b64 s[8:9], s[6:7], -1
                                        ; implicit-def: $vgpr17
	s_and_saveexec_b64 s[10:11], s[8:9]
	s_xor_b64 s[8:9], exec, s[10:11]
; %bb.105:
	v_lshlrev_b32_e32 v17, 1, v21
	ds_read_u16 v17, v17 offset:2
; %bb.106:
	s_or_saveexec_b64 s[8:9], s[8:9]
	v_mov_b32_e32 v18, v16
	s_xor_b64 exec, exec, s[8:9]
	s_cbranch_execz .LBB2_108
; %bb.107:
	s_waitcnt lgkmcnt(0)
	v_lshlrev_b32_e32 v17, 1, v19
	ds_read_u16 v18, v17 offset:2
	v_mov_b32_e32 v17, v15
.LBB2_108:
	s_or_b64 exec, exec, s[8:9]
	v_add_u32_e32 v20, 1, v19
	v_add_u32_e32 v22, 1, v21
	v_cndmask_b32_e64 v20, v19, v20, s[6:7]
	v_cndmask_b32_e64 v19, v22, v21, s[6:7]
	v_cmp_ge_i32_e64 s[10:11], v19, v5
	s_waitcnt lgkmcnt(0)
	v_cmp_lt_u16_e64 s[12:13], v18, v17
	v_cmp_lt_i32_e64 s[8:9], v20, v6
	s_or_b64 s[10:11], s[10:11], s[12:13]
	s_and_b64 s[8:9], s[8:9], s[10:11]
	s_xor_b64 s[10:11], s[8:9], -1
                                        ; implicit-def: $vgpr21
	s_and_saveexec_b64 s[12:13], s[10:11]
	s_xor_b64 s[10:11], exec, s[12:13]
; %bb.109:
	v_lshlrev_b32_e32 v21, 1, v19
	ds_read_u16 v21, v21 offset:2
; %bb.110:
	s_or_saveexec_b64 s[10:11], s[10:11]
	v_mov_b32_e32 v22, v18
	s_xor_b64 exec, exec, s[10:11]
	s_cbranch_execz .LBB2_112
; %bb.111:
	s_waitcnt lgkmcnt(0)
	v_lshlrev_b32_e32 v21, 1, v20
	ds_read_u16 v22, v21 offset:2
	v_mov_b32_e32 v21, v17
.LBB2_112:
	s_or_b64 exec, exec, s[10:11]
	v_cndmask_b32_e64 v17, v17, v18, s[8:9]
	v_add_u32_e32 v18, 1, v20
	v_cndmask_b32_e64 v18, v20, v18, s[8:9]
	v_add_u32_e32 v20, 1, v19
	v_cndmask_b32_e64 v19, v20, v19, s[8:9]
	v_cndmask_b32_e64 v11, v11, v12, s[2:3]
	;; [unrolled: 1-line block ×3, first 2 shown]
	v_cmp_ge_i32_e64 s[0:1], v19, v5
	s_waitcnt lgkmcnt(0)
	v_cmp_lt_u16_e64 s[2:3], v22, v21
	v_cndmask_b32_e32 v8, v7, v8, vcc
	v_cmp_lt_i32_e32 vcc, v18, v6
	s_or_b64 s[0:1], s[0:1], s[2:3]
	v_cndmask_b32_e64 v15, v15, v16, s[6:7]
	v_cndmask_b32_e64 v13, v13, v14, s[4:5]
	s_and_b64 vcc, vcc, s[0:1]
	s_mov_b32 s0, 0x5040100
	v_perm_b32 v7, v17, v15, s0
	v_perm_b32 v6, v13, v11, s0
	;; [unrolled: 1-line block ×3, first 2 shown]
	v_cndmask_b32_e32 v10, v21, v22, vcc
	s_barrier
	ds_write_b96 v4, v[5:7]
	ds_write_b16 v4, v10 offset:12
	v_and_b32_e32 v5, 0xe0, v0
	v_mul_u32_u24_e32 v6, 7, v5
	v_and_b32_e32 v5, 31, v0
	v_min_u32_e32 v8, 0x700, v6
	v_min_u32_e32 v7, 0x690, v6
	;; [unrolled: 1-line block ×3, first 2 shown]
	v_mul_u32_u24_e32 v9, 7, v5
	v_add_u32_e32 v5, 0x70, v7
	v_add_u32_e32 v6, 0xe0, v6
	v_sub_u32_e32 v10, v6, v5
	v_sub_u32_e32 v12, v5, v8
	;; [unrolled: 1-line block ×3, first 2 shown]
	v_cmp_ge_i32_e32 vcc, v9, v10
	v_cndmask_b32_e32 v10, 0, v13, vcc
	v_min_i32_e32 v12, v9, v12
	v_lshlrev_b32_e32 v11, 1, v8
	v_cmp_lt_i32_e32 vcc, v10, v12
	s_waitcnt lgkmcnt(0)
	s_barrier
	s_and_saveexec_b64 s[0:1], vcc
	s_cbranch_execz .LBB2_116
; %bb.113:
	v_lshlrev_b32_e32 v13, 1, v9
	v_lshl_add_u32 v13, v7, 1, v13
	s_mov_b64 s[2:3], 0
.LBB2_114:                              ; =>This Inner Loop Header: Depth=1
	v_sub_u32_e32 v14, v12, v10
	v_lshrrev_b32_e32 v14, 1, v14
	v_add_u32_e32 v14, v14, v10
	v_not_b32_e32 v16, v14
	v_lshl_add_u32 v15, v14, 1, v11
	v_lshl_add_u32 v16, v16, 1, v13
	ds_read_u16 v15, v15
	ds_read_u16 v16, v16 offset:224
	v_add_u32_e32 v17, 1, v14
	s_waitcnt lgkmcnt(0)
	v_cmp_lt_u16_e32 vcc, v16, v15
	v_cndmask_b32_e32 v12, v12, v14, vcc
	v_cndmask_b32_e32 v10, v17, v10, vcc
	v_cmp_ge_i32_e32 vcc, v10, v12
	s_or_b64 s[2:3], vcc, s[2:3]
	s_andn2_b64 exec, exec, s[2:3]
	s_cbranch_execnz .LBB2_114
; %bb.115:
	s_or_b64 exec, exec, s[2:3]
.LBB2_116:
	s_or_b64 exec, exec, s[0:1]
	v_add_u32_e32 v7, v7, v9
	v_lshl_add_u32 v14, v10, 1, v11
	v_sub_u32_e32 v7, v7, v10
	v_add_u32_e32 v12, v10, v8
	v_lshlrev_b32_e32 v13, 1, v7
	ds_read_u16 v7, v14
	ds_read_u16 v8, v13 offset:224
	v_add_u32_e32 v9, v5, v9
	v_sub_u32_e32 v11, v9, v10
	v_cmp_le_i32_e64 s[0:1], v5, v12
	v_cmp_gt_i32_e32 vcc, v6, v11
	s_waitcnt lgkmcnt(0)
	v_cmp_lt_u16_e64 s[2:3], v8, v7
	s_or_b64 s[0:1], s[0:1], s[2:3]
	s_and_b64 vcc, vcc, s[0:1]
	s_xor_b64 s[0:1], vcc, -1
                                        ; implicit-def: $vgpr9
	s_and_saveexec_b64 s[2:3], s[0:1]
	s_xor_b64 s[0:1], exec, s[2:3]
; %bb.117:
	ds_read_u16 v9, v14 offset:2
                                        ; implicit-def: $vgpr13
; %bb.118:
	s_or_saveexec_b64 s[0:1], s[0:1]
	v_mov_b32_e32 v10, v8
	s_xor_b64 exec, exec, s[0:1]
	s_cbranch_execz .LBB2_120
; %bb.119:
	ds_read_u16 v10, v13 offset:226
	s_waitcnt lgkmcnt(1)
	v_mov_b32_e32 v9, v7
.LBB2_120:
	s_or_b64 exec, exec, s[0:1]
	v_add_u32_e32 v14, 1, v12
	v_add_u32_e32 v13, 1, v11
	v_cndmask_b32_e32 v14, v14, v12, vcc
	v_cndmask_b32_e32 v13, v11, v13, vcc
	v_cmp_ge_i32_e64 s[2:3], v14, v5
	s_waitcnt lgkmcnt(0)
	v_cmp_lt_u16_e64 s[4:5], v10, v9
	v_cmp_lt_i32_e64 s[0:1], v13, v6
	s_or_b64 s[2:3], s[2:3], s[4:5]
	s_and_b64 s[0:1], s[0:1], s[2:3]
	s_xor_b64 s[2:3], s[0:1], -1
                                        ; implicit-def: $vgpr11
	s_and_saveexec_b64 s[4:5], s[2:3]
	s_xor_b64 s[2:3], exec, s[4:5]
; %bb.121:
	v_lshlrev_b32_e32 v11, 1, v14
	ds_read_u16 v11, v11 offset:2
; %bb.122:
	s_or_saveexec_b64 s[2:3], s[2:3]
	v_mov_b32_e32 v12, v10
	s_xor_b64 exec, exec, s[2:3]
	s_cbranch_execz .LBB2_124
; %bb.123:
	s_waitcnt lgkmcnt(0)
	v_lshlrev_b32_e32 v11, 1, v13
	ds_read_u16 v12, v11 offset:2
	v_mov_b32_e32 v11, v9
.LBB2_124:
	s_or_b64 exec, exec, s[2:3]
	v_add_u32_e32 v16, 1, v14
	v_add_u32_e32 v15, 1, v13
	v_cndmask_b32_e64 v16, v16, v14, s[0:1]
	v_cndmask_b32_e64 v15, v13, v15, s[0:1]
	v_cmp_ge_i32_e64 s[4:5], v16, v5
	s_waitcnt lgkmcnt(0)
	v_cmp_lt_u16_e64 s[6:7], v12, v11
	v_cmp_lt_i32_e64 s[2:3], v15, v6
	s_or_b64 s[4:5], s[4:5], s[6:7]
	s_and_b64 s[2:3], s[2:3], s[4:5]
	s_xor_b64 s[4:5], s[2:3], -1
                                        ; implicit-def: $vgpr13
	s_and_saveexec_b64 s[6:7], s[4:5]
	s_xor_b64 s[4:5], exec, s[6:7]
; %bb.125:
	v_lshlrev_b32_e32 v13, 1, v16
	ds_read_u16 v13, v13 offset:2
; %bb.126:
	s_or_saveexec_b64 s[4:5], s[4:5]
	v_mov_b32_e32 v14, v12
	s_xor_b64 exec, exec, s[4:5]
	s_cbranch_execz .LBB2_128
; %bb.127:
	s_waitcnt lgkmcnt(0)
	v_lshlrev_b32_e32 v13, 1, v15
	ds_read_u16 v14, v13 offset:2
	v_mov_b32_e32 v13, v11
.LBB2_128:
	s_or_b64 exec, exec, s[4:5]
	v_add_u32_e32 v18, 1, v16
	v_add_u32_e32 v17, 1, v15
	v_cndmask_b32_e64 v18, v18, v16, s[2:3]
	v_cndmask_b32_e64 v17, v15, v17, s[2:3]
	v_cmp_ge_i32_e64 s[6:7], v18, v5
	s_waitcnt lgkmcnt(0)
	v_cmp_lt_u16_e64 s[8:9], v14, v13
	v_cmp_lt_i32_e64 s[4:5], v17, v6
	s_or_b64 s[6:7], s[6:7], s[8:9]
	s_and_b64 s[4:5], s[4:5], s[6:7]
	s_xor_b64 s[6:7], s[4:5], -1
                                        ; implicit-def: $vgpr15
	s_and_saveexec_b64 s[8:9], s[6:7]
	s_xor_b64 s[6:7], exec, s[8:9]
; %bb.129:
	v_lshlrev_b32_e32 v15, 1, v18
	ds_read_u16 v15, v15 offset:2
; %bb.130:
	s_or_saveexec_b64 s[6:7], s[6:7]
	v_mov_b32_e32 v16, v14
	s_xor_b64 exec, exec, s[6:7]
	s_cbranch_execz .LBB2_132
; %bb.131:
	s_waitcnt lgkmcnt(0)
	v_lshlrev_b32_e32 v15, 1, v17
	ds_read_u16 v16, v15 offset:2
	v_mov_b32_e32 v15, v13
.LBB2_132:
	s_or_b64 exec, exec, s[6:7]
	v_add_u32_e32 v20, 1, v18
	v_add_u32_e32 v19, 1, v17
	v_cndmask_b32_e64 v21, v20, v18, s[4:5]
	v_cndmask_b32_e64 v19, v17, v19, s[4:5]
	v_cmp_ge_i32_e64 s[8:9], v21, v5
	s_waitcnt lgkmcnt(0)
	v_cmp_lt_u16_e64 s[10:11], v16, v15
	v_cmp_lt_i32_e64 s[6:7], v19, v6
	s_or_b64 s[8:9], s[8:9], s[10:11]
	s_and_b64 s[6:7], s[6:7], s[8:9]
	s_xor_b64 s[8:9], s[6:7], -1
                                        ; implicit-def: $vgpr17
	s_and_saveexec_b64 s[10:11], s[8:9]
	s_xor_b64 s[8:9], exec, s[10:11]
; %bb.133:
	v_lshlrev_b32_e32 v17, 1, v21
	ds_read_u16 v17, v17 offset:2
; %bb.134:
	s_or_saveexec_b64 s[8:9], s[8:9]
	v_mov_b32_e32 v18, v16
	s_xor_b64 exec, exec, s[8:9]
	s_cbranch_execz .LBB2_136
; %bb.135:
	s_waitcnt lgkmcnt(0)
	v_lshlrev_b32_e32 v17, 1, v19
	ds_read_u16 v18, v17 offset:2
	v_mov_b32_e32 v17, v15
.LBB2_136:
	s_or_b64 exec, exec, s[8:9]
	v_add_u32_e32 v20, 1, v19
	v_add_u32_e32 v22, 1, v21
	v_cndmask_b32_e64 v20, v19, v20, s[6:7]
	v_cndmask_b32_e64 v19, v22, v21, s[6:7]
	v_cmp_ge_i32_e64 s[10:11], v19, v5
	s_waitcnt lgkmcnt(0)
	v_cmp_lt_u16_e64 s[12:13], v18, v17
	v_cmp_lt_i32_e64 s[8:9], v20, v6
	s_or_b64 s[10:11], s[10:11], s[12:13]
	s_and_b64 s[8:9], s[8:9], s[10:11]
	s_xor_b64 s[10:11], s[8:9], -1
                                        ; implicit-def: $vgpr21
	s_and_saveexec_b64 s[12:13], s[10:11]
	s_xor_b64 s[10:11], exec, s[12:13]
; %bb.137:
	v_lshlrev_b32_e32 v21, 1, v19
	ds_read_u16 v21, v21 offset:2
; %bb.138:
	s_or_saveexec_b64 s[10:11], s[10:11]
	v_mov_b32_e32 v22, v18
	s_xor_b64 exec, exec, s[10:11]
	s_cbranch_execz .LBB2_140
; %bb.139:
	s_waitcnt lgkmcnt(0)
	v_lshlrev_b32_e32 v21, 1, v20
	ds_read_u16 v22, v21 offset:2
	v_mov_b32_e32 v21, v17
.LBB2_140:
	s_or_b64 exec, exec, s[10:11]
	v_cndmask_b32_e64 v17, v17, v18, s[8:9]
	v_add_u32_e32 v18, 1, v20
	v_cndmask_b32_e64 v18, v20, v18, s[8:9]
	v_add_u32_e32 v20, 1, v19
	v_cndmask_b32_e64 v19, v20, v19, s[8:9]
	v_cndmask_b32_e64 v11, v11, v12, s[2:3]
	;; [unrolled: 1-line block ×3, first 2 shown]
	v_cmp_ge_i32_e64 s[0:1], v19, v5
	s_waitcnt lgkmcnt(0)
	v_cmp_lt_u16_e64 s[2:3], v22, v21
	v_cndmask_b32_e32 v8, v7, v8, vcc
	v_cmp_lt_i32_e32 vcc, v18, v6
	s_or_b64 s[0:1], s[0:1], s[2:3]
	v_cndmask_b32_e64 v15, v15, v16, s[6:7]
	v_cndmask_b32_e64 v13, v13, v14, s[4:5]
	s_and_b64 vcc, vcc, s[0:1]
	s_mov_b32 s0, 0x5040100
	v_perm_b32 v7, v17, v15, s0
	v_perm_b32 v6, v13, v11, s0
	;; [unrolled: 1-line block ×3, first 2 shown]
	v_cndmask_b32_e32 v10, v21, v22, vcc
	s_barrier
	ds_write_b96 v4, v[5:7]
	ds_write_b16 v4, v10 offset:12
	v_and_b32_e32 v5, 0xc0, v0
	v_mul_u32_u24_e32 v6, 7, v5
	v_and_b32_e32 v5, 63, v0
	v_min_u32_e32 v8, 0x700, v6
	v_min_u32_e32 v7, 0x620, v6
	;; [unrolled: 1-line block ×3, first 2 shown]
	v_mul_u32_u24_e32 v9, 7, v5
	v_add_u32_e32 v5, 0xe0, v7
	v_add_u32_e32 v6, 0x1c0, v6
	v_sub_u32_e32 v10, v6, v5
	v_sub_u32_e32 v12, v5, v8
	;; [unrolled: 1-line block ×3, first 2 shown]
	v_cmp_ge_i32_e32 vcc, v9, v10
	v_cndmask_b32_e32 v10, 0, v13, vcc
	v_min_i32_e32 v12, v9, v12
	v_lshlrev_b32_e32 v11, 1, v8
	v_cmp_lt_i32_e32 vcc, v10, v12
	s_waitcnt lgkmcnt(0)
	s_barrier
	s_and_saveexec_b64 s[0:1], vcc
	s_cbranch_execz .LBB2_144
; %bb.141:
	v_lshlrev_b32_e32 v13, 1, v9
	v_lshl_add_u32 v13, v7, 1, v13
	s_mov_b64 s[2:3], 0
.LBB2_142:                              ; =>This Inner Loop Header: Depth=1
	v_sub_u32_e32 v14, v12, v10
	v_lshrrev_b32_e32 v14, 1, v14
	v_add_u32_e32 v14, v14, v10
	v_not_b32_e32 v16, v14
	v_lshl_add_u32 v15, v14, 1, v11
	v_lshl_add_u32 v16, v16, 1, v13
	ds_read_u16 v15, v15
	ds_read_u16 v16, v16 offset:448
	v_add_u32_e32 v17, 1, v14
	s_waitcnt lgkmcnt(0)
	v_cmp_lt_u16_e32 vcc, v16, v15
	v_cndmask_b32_e32 v12, v12, v14, vcc
	v_cndmask_b32_e32 v10, v17, v10, vcc
	v_cmp_ge_i32_e32 vcc, v10, v12
	s_or_b64 s[2:3], vcc, s[2:3]
	s_andn2_b64 exec, exec, s[2:3]
	s_cbranch_execnz .LBB2_142
; %bb.143:
	s_or_b64 exec, exec, s[2:3]
.LBB2_144:
	s_or_b64 exec, exec, s[0:1]
	v_add_u32_e32 v7, v7, v9
	v_lshl_add_u32 v14, v10, 1, v11
	v_sub_u32_e32 v7, v7, v10
	v_add_u32_e32 v12, v10, v8
	v_lshlrev_b32_e32 v13, 1, v7
	ds_read_u16 v7, v14
	ds_read_u16 v8, v13 offset:448
	v_add_u32_e32 v9, v5, v9
	v_sub_u32_e32 v11, v9, v10
	v_cmp_le_i32_e64 s[0:1], v5, v12
	v_cmp_gt_i32_e32 vcc, v6, v11
	s_waitcnt lgkmcnt(0)
	v_cmp_lt_u16_e64 s[2:3], v8, v7
	s_or_b64 s[0:1], s[0:1], s[2:3]
	s_and_b64 vcc, vcc, s[0:1]
	s_xor_b64 s[0:1], vcc, -1
                                        ; implicit-def: $vgpr9
	s_and_saveexec_b64 s[2:3], s[0:1]
	s_xor_b64 s[0:1], exec, s[2:3]
; %bb.145:
	ds_read_u16 v9, v14 offset:2
                                        ; implicit-def: $vgpr13
; %bb.146:
	s_or_saveexec_b64 s[0:1], s[0:1]
	v_mov_b32_e32 v10, v8
	s_xor_b64 exec, exec, s[0:1]
	s_cbranch_execz .LBB2_148
; %bb.147:
	ds_read_u16 v10, v13 offset:450
	s_waitcnt lgkmcnt(1)
	v_mov_b32_e32 v9, v7
.LBB2_148:
	s_or_b64 exec, exec, s[0:1]
	v_add_u32_e32 v14, 1, v12
	v_add_u32_e32 v13, 1, v11
	v_cndmask_b32_e32 v14, v14, v12, vcc
	v_cndmask_b32_e32 v13, v11, v13, vcc
	v_cmp_ge_i32_e64 s[2:3], v14, v5
	s_waitcnt lgkmcnt(0)
	v_cmp_lt_u16_e64 s[4:5], v10, v9
	v_cmp_lt_i32_e64 s[0:1], v13, v6
	s_or_b64 s[2:3], s[2:3], s[4:5]
	s_and_b64 s[0:1], s[0:1], s[2:3]
	s_xor_b64 s[2:3], s[0:1], -1
                                        ; implicit-def: $vgpr11
	s_and_saveexec_b64 s[4:5], s[2:3]
	s_xor_b64 s[2:3], exec, s[4:5]
; %bb.149:
	v_lshlrev_b32_e32 v11, 1, v14
	ds_read_u16 v11, v11 offset:2
; %bb.150:
	s_or_saveexec_b64 s[2:3], s[2:3]
	v_mov_b32_e32 v12, v10
	s_xor_b64 exec, exec, s[2:3]
	s_cbranch_execz .LBB2_152
; %bb.151:
	s_waitcnt lgkmcnt(0)
	v_lshlrev_b32_e32 v11, 1, v13
	ds_read_u16 v12, v11 offset:2
	v_mov_b32_e32 v11, v9
.LBB2_152:
	s_or_b64 exec, exec, s[2:3]
	v_add_u32_e32 v16, 1, v14
	v_add_u32_e32 v15, 1, v13
	v_cndmask_b32_e64 v16, v16, v14, s[0:1]
	v_cndmask_b32_e64 v15, v13, v15, s[0:1]
	v_cmp_ge_i32_e64 s[4:5], v16, v5
	s_waitcnt lgkmcnt(0)
	v_cmp_lt_u16_e64 s[6:7], v12, v11
	v_cmp_lt_i32_e64 s[2:3], v15, v6
	s_or_b64 s[4:5], s[4:5], s[6:7]
	s_and_b64 s[2:3], s[2:3], s[4:5]
	s_xor_b64 s[4:5], s[2:3], -1
                                        ; implicit-def: $vgpr13
	s_and_saveexec_b64 s[6:7], s[4:5]
	s_xor_b64 s[4:5], exec, s[6:7]
; %bb.153:
	v_lshlrev_b32_e32 v13, 1, v16
	ds_read_u16 v13, v13 offset:2
; %bb.154:
	s_or_saveexec_b64 s[4:5], s[4:5]
	v_mov_b32_e32 v14, v12
	s_xor_b64 exec, exec, s[4:5]
	s_cbranch_execz .LBB2_156
; %bb.155:
	s_waitcnt lgkmcnt(0)
	v_lshlrev_b32_e32 v13, 1, v15
	ds_read_u16 v14, v13 offset:2
	v_mov_b32_e32 v13, v11
.LBB2_156:
	s_or_b64 exec, exec, s[4:5]
	v_add_u32_e32 v18, 1, v16
	v_add_u32_e32 v17, 1, v15
	v_cndmask_b32_e64 v18, v18, v16, s[2:3]
	v_cndmask_b32_e64 v17, v15, v17, s[2:3]
	v_cmp_ge_i32_e64 s[6:7], v18, v5
	s_waitcnt lgkmcnt(0)
	v_cmp_lt_u16_e64 s[8:9], v14, v13
	v_cmp_lt_i32_e64 s[4:5], v17, v6
	s_or_b64 s[6:7], s[6:7], s[8:9]
	s_and_b64 s[4:5], s[4:5], s[6:7]
	s_xor_b64 s[6:7], s[4:5], -1
                                        ; implicit-def: $vgpr15
	s_and_saveexec_b64 s[8:9], s[6:7]
	s_xor_b64 s[6:7], exec, s[8:9]
; %bb.157:
	v_lshlrev_b32_e32 v15, 1, v18
	ds_read_u16 v15, v15 offset:2
; %bb.158:
	s_or_saveexec_b64 s[6:7], s[6:7]
	v_mov_b32_e32 v16, v14
	s_xor_b64 exec, exec, s[6:7]
	s_cbranch_execz .LBB2_160
; %bb.159:
	s_waitcnt lgkmcnt(0)
	v_lshlrev_b32_e32 v15, 1, v17
	ds_read_u16 v16, v15 offset:2
	v_mov_b32_e32 v15, v13
.LBB2_160:
	s_or_b64 exec, exec, s[6:7]
	v_add_u32_e32 v20, 1, v18
	v_add_u32_e32 v19, 1, v17
	v_cndmask_b32_e64 v21, v20, v18, s[4:5]
	v_cndmask_b32_e64 v19, v17, v19, s[4:5]
	v_cmp_ge_i32_e64 s[8:9], v21, v5
	s_waitcnt lgkmcnt(0)
	v_cmp_lt_u16_e64 s[10:11], v16, v15
	v_cmp_lt_i32_e64 s[6:7], v19, v6
	s_or_b64 s[8:9], s[8:9], s[10:11]
	s_and_b64 s[6:7], s[6:7], s[8:9]
	s_xor_b64 s[8:9], s[6:7], -1
                                        ; implicit-def: $vgpr17
	s_and_saveexec_b64 s[10:11], s[8:9]
	s_xor_b64 s[8:9], exec, s[10:11]
; %bb.161:
	v_lshlrev_b32_e32 v17, 1, v21
	ds_read_u16 v17, v17 offset:2
; %bb.162:
	s_or_saveexec_b64 s[8:9], s[8:9]
	v_mov_b32_e32 v18, v16
	s_xor_b64 exec, exec, s[8:9]
	s_cbranch_execz .LBB2_164
; %bb.163:
	s_waitcnt lgkmcnt(0)
	v_lshlrev_b32_e32 v17, 1, v19
	ds_read_u16 v18, v17 offset:2
	v_mov_b32_e32 v17, v15
.LBB2_164:
	s_or_b64 exec, exec, s[8:9]
	v_add_u32_e32 v20, 1, v19
	v_add_u32_e32 v22, 1, v21
	v_cndmask_b32_e64 v20, v19, v20, s[6:7]
	v_cndmask_b32_e64 v19, v22, v21, s[6:7]
	v_cmp_ge_i32_e64 s[10:11], v19, v5
	s_waitcnt lgkmcnt(0)
	v_cmp_lt_u16_e64 s[12:13], v18, v17
	v_cmp_lt_i32_e64 s[8:9], v20, v6
	s_or_b64 s[10:11], s[10:11], s[12:13]
	s_and_b64 s[8:9], s[8:9], s[10:11]
	s_xor_b64 s[10:11], s[8:9], -1
                                        ; implicit-def: $vgpr21
	s_and_saveexec_b64 s[12:13], s[10:11]
	s_xor_b64 s[10:11], exec, s[12:13]
; %bb.165:
	v_lshlrev_b32_e32 v21, 1, v19
	ds_read_u16 v21, v21 offset:2
; %bb.166:
	s_or_saveexec_b64 s[10:11], s[10:11]
	v_mov_b32_e32 v22, v18
	s_xor_b64 exec, exec, s[10:11]
	s_cbranch_execz .LBB2_168
; %bb.167:
	s_waitcnt lgkmcnt(0)
	v_lshlrev_b32_e32 v21, 1, v20
	ds_read_u16 v22, v21 offset:2
	v_mov_b32_e32 v21, v17
.LBB2_168:
	s_or_b64 exec, exec, s[10:11]
	v_cndmask_b32_e64 v17, v17, v18, s[8:9]
	v_add_u32_e32 v18, 1, v20
	v_cndmask_b32_e64 v18, v20, v18, s[8:9]
	v_add_u32_e32 v20, 1, v19
	v_cndmask_b32_e64 v19, v20, v19, s[8:9]
	v_cndmask_b32_e64 v11, v11, v12, s[2:3]
	;; [unrolled: 1-line block ×3, first 2 shown]
	v_cmp_ge_i32_e64 s[0:1], v19, v5
	s_waitcnt lgkmcnt(0)
	v_cmp_lt_u16_e64 s[2:3], v22, v21
	v_cndmask_b32_e32 v8, v7, v8, vcc
	v_cmp_lt_i32_e32 vcc, v18, v6
	s_or_b64 s[0:1], s[0:1], s[2:3]
	v_cndmask_b32_e64 v15, v15, v16, s[6:7]
	v_cndmask_b32_e64 v13, v13, v14, s[4:5]
	s_and_b64 vcc, vcc, s[0:1]
	s_mov_b32 s0, 0x5040100
	v_perm_b32 v7, v17, v15, s0
	v_perm_b32 v6, v13, v11, s0
	;; [unrolled: 1-line block ×3, first 2 shown]
	v_cndmask_b32_e32 v10, v21, v22, vcc
	s_barrier
	ds_write_b96 v4, v[5:7]
	ds_write_b16 v4, v10 offset:12
	v_and_b32_e32 v5, 0x80, v0
	v_mul_u32_u24_e32 v5, 7, v5
	v_and_b32_e32 v0, 0x7f, v0
	v_min_u32_e32 v7, 0x700, v5
	v_min_u32_e32 v6, 0x540, v5
	;; [unrolled: 1-line block ×3, first 2 shown]
	v_mul_u32_u24_e32 v8, 7, v0
	v_add_u32_e32 v0, 0x1c0, v6
	v_add_u32_e32 v5, 0x380, v5
	v_sub_u32_e32 v9, v5, v0
	v_sub_u32_e32 v11, v0, v7
	;; [unrolled: 1-line block ×3, first 2 shown]
	v_cmp_ge_i32_e32 vcc, v8, v9
	v_cndmask_b32_e32 v9, 0, v12, vcc
	v_min_i32_e32 v11, v8, v11
	v_lshlrev_b32_e32 v10, 1, v7
	v_cmp_lt_i32_e32 vcc, v9, v11
	s_waitcnt lgkmcnt(0)
	s_barrier
	s_and_saveexec_b64 s[0:1], vcc
	s_cbranch_execz .LBB2_172
; %bb.169:
	v_lshlrev_b32_e32 v12, 1, v8
	v_lshl_add_u32 v12, v6, 1, v12
	s_mov_b64 s[2:3], 0
.LBB2_170:                              ; =>This Inner Loop Header: Depth=1
	v_sub_u32_e32 v13, v11, v9
	v_lshrrev_b32_e32 v13, 1, v13
	v_add_u32_e32 v13, v13, v9
	v_not_b32_e32 v15, v13
	v_lshl_add_u32 v14, v13, 1, v10
	v_lshl_add_u32 v15, v15, 1, v12
	ds_read_u16 v14, v14
	ds_read_u16 v15, v15 offset:896
	v_add_u32_e32 v16, 1, v13
	s_waitcnt lgkmcnt(0)
	v_cmp_lt_u16_e32 vcc, v15, v14
	v_cndmask_b32_e32 v11, v11, v13, vcc
	v_cndmask_b32_e32 v9, v16, v9, vcc
	v_cmp_ge_i32_e32 vcc, v9, v11
	s_or_b64 s[2:3], vcc, s[2:3]
	s_andn2_b64 exec, exec, s[2:3]
	s_cbranch_execnz .LBB2_170
; %bb.171:
	s_or_b64 exec, exec, s[2:3]
.LBB2_172:
	s_or_b64 exec, exec, s[0:1]
	v_add_u32_e32 v6, v6, v8
	v_lshl_add_u32 v13, v9, 1, v10
	v_sub_u32_e32 v6, v6, v9
	v_add_u32_e32 v11, v9, v7
	v_lshlrev_b32_e32 v12, 1, v6
	ds_read_u16 v6, v13
	ds_read_u16 v7, v12 offset:896
	v_add_u32_e32 v8, v0, v8
	v_sub_u32_e32 v10, v8, v9
	v_cmp_le_i32_e64 s[0:1], v0, v11
	v_cmp_gt_i32_e32 vcc, v5, v10
	s_waitcnt lgkmcnt(0)
	v_cmp_lt_u16_e64 s[2:3], v7, v6
	s_or_b64 s[0:1], s[0:1], s[2:3]
	s_and_b64 vcc, vcc, s[0:1]
	s_xor_b64 s[0:1], vcc, -1
                                        ; implicit-def: $vgpr8
	s_and_saveexec_b64 s[2:3], s[0:1]
	s_xor_b64 s[0:1], exec, s[2:3]
; %bb.173:
	ds_read_u16 v8, v13 offset:2
                                        ; implicit-def: $vgpr12
; %bb.174:
	s_or_saveexec_b64 s[0:1], s[0:1]
	v_mov_b32_e32 v9, v7
	s_xor_b64 exec, exec, s[0:1]
	s_cbranch_execz .LBB2_176
; %bb.175:
	ds_read_u16 v9, v12 offset:898
	s_waitcnt lgkmcnt(1)
	v_mov_b32_e32 v8, v6
.LBB2_176:
	s_or_b64 exec, exec, s[0:1]
	v_add_u32_e32 v13, 1, v11
	v_add_u32_e32 v12, 1, v10
	v_cndmask_b32_e32 v13, v13, v11, vcc
	v_cndmask_b32_e32 v12, v10, v12, vcc
	v_cmp_ge_i32_e64 s[2:3], v13, v0
	s_waitcnt lgkmcnt(0)
	v_cmp_lt_u16_e64 s[4:5], v9, v8
	v_cmp_lt_i32_e64 s[0:1], v12, v5
	s_or_b64 s[2:3], s[2:3], s[4:5]
	s_and_b64 s[0:1], s[0:1], s[2:3]
	s_xor_b64 s[2:3], s[0:1], -1
                                        ; implicit-def: $vgpr10
	s_and_saveexec_b64 s[4:5], s[2:3]
	s_xor_b64 s[2:3], exec, s[4:5]
; %bb.177:
	v_lshlrev_b32_e32 v10, 1, v13
	ds_read_u16 v10, v10 offset:2
; %bb.178:
	s_or_saveexec_b64 s[2:3], s[2:3]
	v_mov_b32_e32 v11, v9
	s_xor_b64 exec, exec, s[2:3]
	s_cbranch_execz .LBB2_180
; %bb.179:
	s_waitcnt lgkmcnt(0)
	v_lshlrev_b32_e32 v10, 1, v12
	ds_read_u16 v11, v10 offset:2
	v_mov_b32_e32 v10, v8
.LBB2_180:
	s_or_b64 exec, exec, s[2:3]
	v_add_u32_e32 v15, 1, v13
	v_add_u32_e32 v14, 1, v12
	v_cndmask_b32_e64 v15, v15, v13, s[0:1]
	v_cndmask_b32_e64 v14, v12, v14, s[0:1]
	v_cmp_ge_i32_e64 s[4:5], v15, v0
	s_waitcnt lgkmcnt(0)
	v_cmp_lt_u16_e64 s[6:7], v11, v10
	v_cmp_lt_i32_e64 s[2:3], v14, v5
	s_or_b64 s[4:5], s[4:5], s[6:7]
	s_and_b64 s[2:3], s[2:3], s[4:5]
	s_xor_b64 s[4:5], s[2:3], -1
                                        ; implicit-def: $vgpr12
	s_and_saveexec_b64 s[6:7], s[4:5]
	s_xor_b64 s[4:5], exec, s[6:7]
; %bb.181:
	v_lshlrev_b32_e32 v12, 1, v15
	ds_read_u16 v12, v12 offset:2
; %bb.182:
	s_or_saveexec_b64 s[4:5], s[4:5]
	v_mov_b32_e32 v13, v11
	s_xor_b64 exec, exec, s[4:5]
	s_cbranch_execz .LBB2_184
; %bb.183:
	s_waitcnt lgkmcnt(0)
	v_lshlrev_b32_e32 v12, 1, v14
	ds_read_u16 v13, v12 offset:2
	v_mov_b32_e32 v12, v10
.LBB2_184:
	s_or_b64 exec, exec, s[4:5]
	v_add_u32_e32 v17, 1, v15
	v_add_u32_e32 v16, 1, v14
	v_cndmask_b32_e64 v17, v17, v15, s[2:3]
	v_cndmask_b32_e64 v16, v14, v16, s[2:3]
	v_cmp_ge_i32_e64 s[6:7], v17, v0
	s_waitcnt lgkmcnt(0)
	v_cmp_lt_u16_e64 s[8:9], v13, v12
	v_cmp_lt_i32_e64 s[4:5], v16, v5
	s_or_b64 s[6:7], s[6:7], s[8:9]
	s_and_b64 s[4:5], s[4:5], s[6:7]
	s_xor_b64 s[6:7], s[4:5], -1
                                        ; implicit-def: $vgpr14
	s_and_saveexec_b64 s[8:9], s[6:7]
	s_xor_b64 s[6:7], exec, s[8:9]
; %bb.185:
	v_lshlrev_b32_e32 v14, 1, v17
	ds_read_u16 v14, v14 offset:2
; %bb.186:
	s_or_saveexec_b64 s[6:7], s[6:7]
	v_mov_b32_e32 v15, v13
	s_xor_b64 exec, exec, s[6:7]
	s_cbranch_execz .LBB2_188
; %bb.187:
	s_waitcnt lgkmcnt(0)
	v_lshlrev_b32_e32 v14, 1, v16
	ds_read_u16 v15, v14 offset:2
	v_mov_b32_e32 v14, v12
.LBB2_188:
	s_or_b64 exec, exec, s[6:7]
	v_add_u32_e32 v19, 1, v17
	v_add_u32_e32 v18, 1, v16
	v_cndmask_b32_e64 v20, v19, v17, s[4:5]
	v_cndmask_b32_e64 v18, v16, v18, s[4:5]
	v_cmp_ge_i32_e64 s[8:9], v20, v0
	s_waitcnt lgkmcnt(0)
	v_cmp_lt_u16_e64 s[10:11], v15, v14
	v_cmp_lt_i32_e64 s[6:7], v18, v5
	s_or_b64 s[8:9], s[8:9], s[10:11]
	s_and_b64 s[6:7], s[6:7], s[8:9]
	s_xor_b64 s[8:9], s[6:7], -1
                                        ; implicit-def: $vgpr16
	s_and_saveexec_b64 s[10:11], s[8:9]
	s_xor_b64 s[8:9], exec, s[10:11]
; %bb.189:
	v_lshlrev_b32_e32 v16, 1, v20
	ds_read_u16 v16, v16 offset:2
; %bb.190:
	s_or_saveexec_b64 s[8:9], s[8:9]
	v_mov_b32_e32 v17, v15
	s_xor_b64 exec, exec, s[8:9]
	s_cbranch_execz .LBB2_192
; %bb.191:
	s_waitcnt lgkmcnt(0)
	v_lshlrev_b32_e32 v16, 1, v18
	ds_read_u16 v17, v16 offset:2
	v_mov_b32_e32 v16, v14
.LBB2_192:
	s_or_b64 exec, exec, s[8:9]
	v_add_u32_e32 v19, 1, v18
	v_add_u32_e32 v21, 1, v20
	v_cndmask_b32_e64 v19, v18, v19, s[6:7]
	v_cndmask_b32_e64 v18, v21, v20, s[6:7]
	v_cmp_ge_i32_e64 s[10:11], v18, v0
	s_waitcnt lgkmcnt(0)
	v_cmp_lt_u16_e64 s[12:13], v17, v16
	v_cmp_lt_i32_e64 s[8:9], v19, v5
	s_or_b64 s[10:11], s[10:11], s[12:13]
	s_and_b64 s[8:9], s[8:9], s[10:11]
	s_xor_b64 s[10:11], s[8:9], -1
                                        ; implicit-def: $vgpr20
	s_and_saveexec_b64 s[12:13], s[10:11]
	s_xor_b64 s[10:11], exec, s[12:13]
; %bb.193:
	v_lshlrev_b32_e32 v20, 1, v18
	ds_read_u16 v20, v20 offset:2
; %bb.194:
	s_or_saveexec_b64 s[10:11], s[10:11]
	v_mov_b32_e32 v21, v17
	s_xor_b64 exec, exec, s[10:11]
	s_cbranch_execz .LBB2_196
; %bb.195:
	s_waitcnt lgkmcnt(0)
	v_lshlrev_b32_e32 v20, 1, v19
	ds_read_u16 v21, v20 offset:2
	v_mov_b32_e32 v20, v16
.LBB2_196:
	s_or_b64 exec, exec, s[10:11]
	v_cndmask_b32_e64 v16, v16, v17, s[8:9]
	v_add_u32_e32 v17, 1, v19
	v_cndmask_b32_e64 v17, v19, v17, s[8:9]
	v_add_u32_e32 v19, 1, v18
	v_cndmask_b32_e64 v18, v19, v18, s[8:9]
	v_cndmask_b32_e64 v10, v10, v11, s[2:3]
	;; [unrolled: 1-line block ×3, first 2 shown]
	v_cmp_ge_i32_e64 s[0:1], v18, v0
	s_waitcnt lgkmcnt(0)
	v_cmp_lt_u16_e64 s[2:3], v21, v20
	v_cndmask_b32_e32 v9, v6, v7, vcc
	v_cmp_lt_i32_e32 vcc, v17, v5
	s_or_b64 s[0:1], s[0:1], s[2:3]
	v_cndmask_b32_e64 v14, v14, v15, s[6:7]
	v_cndmask_b32_e64 v12, v12, v13, s[4:5]
	s_and_b64 vcc, vcc, s[0:1]
	s_mov_b32 s0, 0x5040100
	v_cndmask_b32_e32 v0, v20, v21, vcc
	v_perm_b32 v7, v16, v14, s0
	v_perm_b32 v6, v12, v10, s0
	;; [unrolled: 1-line block ×3, first 2 shown]
	s_barrier
	ds_write_b96 v4, v[5:7]
	ds_write_b16 v4, v0 offset:12
	v_mov_b32_e32 v0, 0x380
	v_sub_u32_e64 v7, v3, v0 clamp
	v_min_i32_e32 v5, 0x380, v3
	v_cmp_lt_i32_e32 vcc, v7, v5
	s_waitcnt lgkmcnt(0)
	s_barrier
	s_and_saveexec_b64 s[0:1], vcc
	s_cbranch_execz .LBB2_200
; %bb.197:
	s_mov_b64 s[2:3], 0
.LBB2_198:                              ; =>This Inner Loop Header: Depth=1
	v_sub_u32_e32 v6, v5, v7
	v_lshrrev_b32_e32 v6, 1, v6
	v_add_u32_e32 v6, v6, v7
	v_not_b32_e32 v9, v6
	v_lshlrev_b32_e32 v8, 1, v6
	v_lshl_add_u32 v9, v9, 1, v4
	ds_read_u16 v8, v8
	ds_read_u16 v9, v9 offset:1792
	v_add_u32_e32 v10, 1, v6
	s_waitcnt lgkmcnt(0)
	v_cmp_lt_u16_e32 vcc, v9, v8
	v_cndmask_b32_e32 v5, v5, v6, vcc
	v_cndmask_b32_e32 v7, v10, v7, vcc
	v_cmp_ge_i32_e32 vcc, v7, v5
	s_or_b64 s[2:3], vcc, s[2:3]
	s_andn2_b64 exec, exec, s[2:3]
	s_cbranch_execnz .LBB2_198
; %bb.199:
	s_or_b64 exec, exec, s[2:3]
.LBB2_200:
	s_or_b64 exec, exec, s[0:1]
	v_add_u32_e32 v5, 0x380, v3
	v_lshlrev_b32_e32 v6, 1, v7
	v_sub_u32_e32 v3, v3, v7
	v_lshlrev_b32_e32 v9, 1, v3
	ds_read_u16 v3, v6
	ds_read_u16 v4, v9 offset:1792
	v_sub_u32_e32 v8, v5, v7
	s_movk_i32 s0, 0x700
	v_cmp_gt_i32_e32 vcc, s0, v8
	v_cmp_le_i32_e64 s[0:1], v0, v7
	s_waitcnt lgkmcnt(0)
	v_cmp_lt_u16_e64 s[2:3], v4, v3
	s_or_b64 s[0:1], s[0:1], s[2:3]
	s_and_b64 vcc, vcc, s[0:1]
	s_xor_b64 s[0:1], vcc, -1
                                        ; implicit-def: $vgpr5
	s_and_saveexec_b64 s[2:3], s[0:1]
	s_xor_b64 s[0:1], exec, s[2:3]
; %bb.201:
	ds_read_u16 v5, v6 offset:2
                                        ; implicit-def: $vgpr9
; %bb.202:
	s_or_saveexec_b64 s[0:1], s[0:1]
	v_mov_b32_e32 v6, v4
	s_xor_b64 exec, exec, s[0:1]
	s_cbranch_execz .LBB2_204
; %bb.203:
	ds_read_u16 v6, v9 offset:1794
	s_waitcnt lgkmcnt(1)
	v_mov_b32_e32 v5, v3
.LBB2_204:
	s_or_b64 exec, exec, s[0:1]
	v_add_u32_e32 v10, 1, v7
	v_add_u32_e32 v9, 1, v8
	v_cndmask_b32_e32 v10, v10, v7, vcc
	v_cndmask_b32_e32 v9, v8, v9, vcc
	s_movk_i32 s0, 0x700
	v_cmp_ge_i32_e64 s[2:3], v10, v0
	s_waitcnt lgkmcnt(0)
	v_cmp_lt_u16_e64 s[4:5], v6, v5
	v_cmp_gt_i32_e64 s[0:1], s0, v9
	s_or_b64 s[2:3], s[2:3], s[4:5]
	s_and_b64 s[0:1], s[0:1], s[2:3]
	s_xor_b64 s[2:3], s[0:1], -1
                                        ; implicit-def: $vgpr7
	s_and_saveexec_b64 s[4:5], s[2:3]
	s_xor_b64 s[2:3], exec, s[4:5]
; %bb.205:
	v_lshlrev_b32_e32 v7, 1, v10
	ds_read_u16 v7, v7 offset:2
; %bb.206:
	s_or_saveexec_b64 s[2:3], s[2:3]
	v_mov_b32_e32 v8, v6
	s_xor_b64 exec, exec, s[2:3]
	s_cbranch_execz .LBB2_208
; %bb.207:
	s_waitcnt lgkmcnt(0)
	v_lshlrev_b32_e32 v7, 1, v9
	ds_read_u16 v8, v7 offset:2
	v_mov_b32_e32 v7, v5
.LBB2_208:
	s_or_b64 exec, exec, s[2:3]
	v_add_u32_e32 v12, 1, v10
	v_add_u32_e32 v11, 1, v9
	v_cndmask_b32_e64 v12, v12, v10, s[0:1]
	v_cndmask_b32_e64 v11, v9, v11, s[0:1]
	s_movk_i32 s2, 0x700
	v_cmp_ge_i32_e64 s[4:5], v12, v0
	s_waitcnt lgkmcnt(0)
	v_cmp_lt_u16_e64 s[6:7], v8, v7
	v_cmp_gt_i32_e64 s[2:3], s2, v11
	s_or_b64 s[4:5], s[4:5], s[6:7]
	s_and_b64 s[2:3], s[2:3], s[4:5]
	s_xor_b64 s[4:5], s[2:3], -1
                                        ; implicit-def: $vgpr9
	s_and_saveexec_b64 s[6:7], s[4:5]
	s_xor_b64 s[4:5], exec, s[6:7]
; %bb.209:
	v_lshlrev_b32_e32 v9, 1, v12
	ds_read_u16 v9, v9 offset:2
; %bb.210:
	s_or_saveexec_b64 s[4:5], s[4:5]
	v_mov_b32_e32 v10, v8
	s_xor_b64 exec, exec, s[4:5]
	s_cbranch_execz .LBB2_212
; %bb.211:
	s_waitcnt lgkmcnt(0)
	v_lshlrev_b32_e32 v9, 1, v11
	ds_read_u16 v10, v9 offset:2
	v_mov_b32_e32 v9, v7
.LBB2_212:
	s_or_b64 exec, exec, s[4:5]
	v_add_u32_e32 v14, 1, v12
	v_add_u32_e32 v13, 1, v11
	v_cndmask_b32_e64 v14, v14, v12, s[2:3]
	v_cndmask_b32_e64 v13, v11, v13, s[2:3]
	s_movk_i32 s4, 0x700
	v_cmp_ge_i32_e64 s[6:7], v14, v0
	s_waitcnt lgkmcnt(0)
	v_cmp_lt_u16_e64 s[8:9], v10, v9
	v_cmp_gt_i32_e64 s[4:5], s4, v13
	s_or_b64 s[6:7], s[6:7], s[8:9]
	s_and_b64 s[4:5], s[4:5], s[6:7]
	s_xor_b64 s[6:7], s[4:5], -1
                                        ; implicit-def: $vgpr11
	s_and_saveexec_b64 s[8:9], s[6:7]
	s_xor_b64 s[6:7], exec, s[8:9]
; %bb.213:
	v_lshlrev_b32_e32 v11, 1, v14
	ds_read_u16 v11, v11 offset:2
; %bb.214:
	s_or_saveexec_b64 s[6:7], s[6:7]
	v_mov_b32_e32 v12, v10
	s_xor_b64 exec, exec, s[6:7]
	s_cbranch_execz .LBB2_216
; %bb.215:
	s_waitcnt lgkmcnt(0)
	v_lshlrev_b32_e32 v11, 1, v13
	ds_read_u16 v12, v11 offset:2
	v_mov_b32_e32 v11, v9
.LBB2_216:
	s_or_b64 exec, exec, s[6:7]
	v_add_u32_e32 v16, 1, v14
	v_add_u32_e32 v15, 1, v13
	v_cndmask_b32_e64 v16, v16, v14, s[4:5]
	v_cndmask_b32_e64 v15, v13, v15, s[4:5]
	s_movk_i32 s6, 0x700
	v_cmp_ge_i32_e64 s[8:9], v16, v0
	s_waitcnt lgkmcnt(0)
	v_cmp_lt_u16_e64 s[10:11], v12, v11
	v_cmp_gt_i32_e64 s[6:7], s6, v15
	s_or_b64 s[8:9], s[8:9], s[10:11]
	s_and_b64 s[6:7], s[6:7], s[8:9]
	s_xor_b64 s[8:9], s[6:7], -1
                                        ; implicit-def: $vgpr14
	s_and_saveexec_b64 s[10:11], s[8:9]
	s_xor_b64 s[8:9], exec, s[10:11]
; %bb.217:
	v_lshlrev_b32_e32 v13, 1, v16
	ds_read_u16 v14, v13 offset:2
; %bb.218:
	s_or_saveexec_b64 s[8:9], s[8:9]
	v_mov_b32_e32 v13, v12
	s_xor_b64 exec, exec, s[8:9]
	s_cbranch_execz .LBB2_220
; %bb.219:
	v_lshlrev_b32_e32 v13, 1, v15
	ds_read_u16 v13, v13 offset:2
	s_waitcnt lgkmcnt(1)
	v_mov_b32_e32 v14, v11
.LBB2_220:
	s_or_b64 exec, exec, s[8:9]
	v_add_u32_e32 v18, 1, v16
	v_add_u32_e32 v17, 1, v15
	v_cndmask_b32_e64 v18, v18, v16, s[6:7]
	v_cndmask_b32_e64 v15, v15, v17, s[6:7]
	s_movk_i32 s8, 0x6ff
	v_cmp_lt_i32_e64 s[10:11], v18, v0
	s_waitcnt lgkmcnt(0)
	v_cmp_ge_u16_e64 s[12:13], v13, v14
	v_cmp_lt_i32_e64 s[8:9], s8, v15
	s_and_b64 s[10:11], s[10:11], s[12:13]
	s_or_b64 s[8:9], s[8:9], s[10:11]
                                        ; implicit-def: $vgpr16
                                        ; implicit-def: $vgpr17
	s_and_saveexec_b64 s[10:11], s[8:9]
	s_xor_b64 s[8:9], exec, s[10:11]
; %bb.221:
	v_lshlrev_b32_e32 v16, 1, v18
	ds_read_u16 v16, v16 offset:2
	v_add_u32_e32 v17, 1, v18
                                        ; implicit-def: $vgpr18
; %bb.222:
	s_or_saveexec_b64 s[8:9], s[8:9]
	v_mov_b32_e32 v19, v14
	s_xor_b64 exec, exec, s[8:9]
	s_cbranch_execz .LBB2_224
; %bb.223:
	s_waitcnt lgkmcnt(0)
	v_add_u32_e32 v16, 1, v15
	v_lshlrev_b32_e32 v15, 1, v15
	ds_read_u16 v20, v15 offset:2
	v_mov_b32_e32 v19, v13
	v_mov_b32_e32 v17, v18
	;; [unrolled: 1-line block ×4, first 2 shown]
	s_waitcnt lgkmcnt(0)
	v_mov_b32_e32 v13, v20
.LBB2_224:
	s_or_b64 exec, exec, s[8:9]
	v_cndmask_b32_e64 v5, v5, v6, s[0:1]
	s_movk_i32 s0, 0x700
	v_cndmask_b32_e64 v7, v7, v8, s[2:3]
	v_cndmask_b32_e32 v3, v3, v4, vcc
	v_cmp_gt_i32_e32 vcc, s0, v15
	v_cmp_ge_i32_e64 s[0:1], v17, v0
	s_waitcnt lgkmcnt(0)
	v_cmp_lt_u16_e64 s[2:3], v13, v16
	s_or_b64 s[0:1], s[0:1], s[2:3]
	v_cndmask_b32_e64 v11, v11, v12, s[6:7]
	v_cndmask_b32_e64 v9, v9, v10, s[4:5]
	s_and_b64 vcc, vcc, s[0:1]
	s_mov_b32 s0, 0x5040100
	v_perm_b32 v4, v9, v7, s0
	v_perm_b32 v3, v5, v3, s0
	;; [unrolled: 1-line block ×3, first 2 shown]
	v_cndmask_b32_e32 v0, v16, v13, vcc
	global_store_dwordx3 v[1:2], v[3:5], off
	global_store_short v[1:2], v0, off offset:12
	s_endpgm
	.section	.rodata,"a",@progbits
	.p2align	6, 0x0
	.amdhsa_kernel _Z15sort_key_kernelILj256ELj7EtN10test_utils4lessEEvPT1_T2_
		.amdhsa_group_segment_fixed_size 3586
		.amdhsa_private_segment_fixed_size 0
		.amdhsa_kernarg_size 12
		.amdhsa_user_sgpr_count 6
		.amdhsa_user_sgpr_private_segment_buffer 1
		.amdhsa_user_sgpr_dispatch_ptr 0
		.amdhsa_user_sgpr_queue_ptr 0
		.amdhsa_user_sgpr_kernarg_segment_ptr 1
		.amdhsa_user_sgpr_dispatch_id 0
		.amdhsa_user_sgpr_flat_scratch_init 0
		.amdhsa_user_sgpr_private_segment_size 0
		.amdhsa_uses_dynamic_stack 0
		.amdhsa_system_sgpr_private_segment_wavefront_offset 0
		.amdhsa_system_sgpr_workgroup_id_x 1
		.amdhsa_system_sgpr_workgroup_id_y 0
		.amdhsa_system_sgpr_workgroup_id_z 0
		.amdhsa_system_sgpr_workgroup_info 0
		.amdhsa_system_vgpr_workitem_id 0
		.amdhsa_next_free_vgpr 23
		.amdhsa_next_free_sgpr 14
		.amdhsa_reserve_vcc 1
		.amdhsa_reserve_flat_scratch 0
		.amdhsa_float_round_mode_32 0
		.amdhsa_float_round_mode_16_64 0
		.amdhsa_float_denorm_mode_32 3
		.amdhsa_float_denorm_mode_16_64 3
		.amdhsa_dx10_clamp 1
		.amdhsa_ieee_mode 1
		.amdhsa_fp16_overflow 0
		.amdhsa_exception_fp_ieee_invalid_op 0
		.amdhsa_exception_fp_denorm_src 0
		.amdhsa_exception_fp_ieee_div_zero 0
		.amdhsa_exception_fp_ieee_overflow 0
		.amdhsa_exception_fp_ieee_underflow 0
		.amdhsa_exception_fp_ieee_inexact 0
		.amdhsa_exception_int_div_zero 0
	.end_amdhsa_kernel
	.section	.text._Z15sort_key_kernelILj256ELj7EtN10test_utils4lessEEvPT1_T2_,"axG",@progbits,_Z15sort_key_kernelILj256ELj7EtN10test_utils4lessEEvPT1_T2_,comdat
.Lfunc_end2:
	.size	_Z15sort_key_kernelILj256ELj7EtN10test_utils4lessEEvPT1_T2_, .Lfunc_end2-_Z15sort_key_kernelILj256ELj7EtN10test_utils4lessEEvPT1_T2_
                                        ; -- End function
	.set _Z15sort_key_kernelILj256ELj7EtN10test_utils4lessEEvPT1_T2_.num_vgpr, 23
	.set _Z15sort_key_kernelILj256ELj7EtN10test_utils4lessEEvPT1_T2_.num_agpr, 0
	.set _Z15sort_key_kernelILj256ELj7EtN10test_utils4lessEEvPT1_T2_.numbered_sgpr, 14
	.set _Z15sort_key_kernelILj256ELj7EtN10test_utils4lessEEvPT1_T2_.num_named_barrier, 0
	.set _Z15sort_key_kernelILj256ELj7EtN10test_utils4lessEEvPT1_T2_.private_seg_size, 0
	.set _Z15sort_key_kernelILj256ELj7EtN10test_utils4lessEEvPT1_T2_.uses_vcc, 1
	.set _Z15sort_key_kernelILj256ELj7EtN10test_utils4lessEEvPT1_T2_.uses_flat_scratch, 0
	.set _Z15sort_key_kernelILj256ELj7EtN10test_utils4lessEEvPT1_T2_.has_dyn_sized_stack, 0
	.set _Z15sort_key_kernelILj256ELj7EtN10test_utils4lessEEvPT1_T2_.has_recursion, 0
	.set _Z15sort_key_kernelILj256ELj7EtN10test_utils4lessEEvPT1_T2_.has_indirect_call, 0
	.section	.AMDGPU.csdata,"",@progbits
; Kernel info:
; codeLenInByte = 9648
; TotalNumSgprs: 18
; NumVgprs: 23
; ScratchSize: 0
; MemoryBound: 0
; FloatMode: 240
; IeeeMode: 1
; LDSByteSize: 3586 bytes/workgroup (compile time only)
; SGPRBlocks: 2
; VGPRBlocks: 5
; NumSGPRsForWavesPerEU: 18
; NumVGPRsForWavesPerEU: 23
; Occupancy: 10
; WaveLimiterHint : 0
; COMPUTE_PGM_RSRC2:SCRATCH_EN: 0
; COMPUTE_PGM_RSRC2:USER_SGPR: 6
; COMPUTE_PGM_RSRC2:TRAP_HANDLER: 0
; COMPUTE_PGM_RSRC2:TGID_X_EN: 1
; COMPUTE_PGM_RSRC2:TGID_Y_EN: 0
; COMPUTE_PGM_RSRC2:TGID_Z_EN: 0
; COMPUTE_PGM_RSRC2:TIDIG_COMP_CNT: 0
	.section	.text._Z15sort_key_kernelILj128ELj4EiN10test_utils4lessEEvPT1_T2_,"axG",@progbits,_Z15sort_key_kernelILj128ELj4EiN10test_utils4lessEEvPT1_T2_,comdat
	.protected	_Z15sort_key_kernelILj128ELj4EiN10test_utils4lessEEvPT1_T2_ ; -- Begin function _Z15sort_key_kernelILj128ELj4EiN10test_utils4lessEEvPT1_T2_
	.globl	_Z15sort_key_kernelILj128ELj4EiN10test_utils4lessEEvPT1_T2_
	.p2align	8
	.type	_Z15sort_key_kernelILj128ELj4EiN10test_utils4lessEEvPT1_T2_,@function
_Z15sort_key_kernelILj128ELj4EiN10test_utils4lessEEvPT1_T2_: ; @_Z15sort_key_kernelILj128ELj4EiN10test_utils4lessEEvPT1_T2_
; %bb.0:
	s_load_dwordx2 s[0:1], s[4:5], 0x0
	s_lshl_b32 s2, s6, 9
	s_mov_b32 s3, 0
	s_lshl_b64 s[2:3], s[2:3], 2
	v_lshlrev_b32_e32 v1, 4, v0
	s_waitcnt lgkmcnt(0)
	s_add_u32 s0, s0, s2
	s_addc_u32 s1, s1, s3
	global_load_dwordx4 v[11:14], v1, s[0:1]
	v_lshlrev_b32_e32 v0, 2, v0
	v_and_b32_e32 v8, 0x1f8, v0
	v_or_b32_e32 v2, 4, v8
	v_add_u32_e32 v3, 8, v8
	v_and_b32_e32 v6, 4, v0
	v_sub_u32_e32 v5, v3, v2
	v_sub_u32_e32 v4, v2, v8
	;; [unrolled: 1-line block ×3, first 2 shown]
	v_cmp_ge_i32_e32 vcc, v6, v5
	v_min_i32_e32 v10, v6, v4
	v_cndmask_b32_e32 v9, 0, v9, vcc
	v_mov_b32_e32 v5, s1
	v_add_co_u32_e32 v4, vcc, s0, v1
	v_addc_co_u32_e32 v5, vcc, 0, v5, vcc
	v_lshlrev_b32_e32 v7, 2, v8
	s_waitcnt vmcnt(0)
	s_barrier
	v_cmp_lt_i32_e32 vcc, v12, v11
	v_max_i32_e32 v17, v12, v11
	v_cmp_lt_i32_e64 s[0:1], v14, v13
	v_min_i32_e32 v20, v14, v13
	v_cndmask_b32_e32 v15, v11, v12, vcc
	v_min_i32_e32 v16, v12, v11
	v_max_i32_e32 v19, v14, v13
	v_cndmask_b32_e32 v11, v12, v11, vcc
	v_cndmask_b32_e64 v12, v13, v14, s[0:1]
	v_cmp_lt_i32_e32 vcc, v20, v17
	v_cndmask_b32_e64 v18, v14, v13, s[0:1]
	v_max_i32_e32 v13, v20, v17
	v_min_i32_e32 v14, v20, v17
	v_cndmask_b32_e32 v12, v12, v17, vcc
	v_cndmask_b32_e32 v11, v11, v20, vcc
	v_cmp_lt_i32_e32 vcc, v20, v16
	v_cmp_gt_i32_e64 s[0:1], v17, v19
	v_cndmask_b32_e32 v15, v15, v14, vcc
	v_cndmask_b32_e32 v14, v14, v16, vcc
	v_cndmask_b32_e64 v17, v18, v13, s[0:1]
	v_cndmask_b32_e64 v13, v13, v19, s[0:1]
	v_cndmask_b32_e32 v11, v11, v16, vcc
	v_cndmask_b32_e64 v12, v12, v19, s[0:1]
	v_cmp_lt_i32_e32 vcc, v13, v14
	v_cndmask_b32_e32 v12, v12, v14, vcc
	v_cndmask_b32_e32 v11, v11, v13, vcc
	v_cmp_lt_i32_e32 vcc, v9, v10
	ds_write2_b32 v1, v15, v11 offset1:1
	ds_write2_b32 v1, v12, v17 offset0:2 offset1:3
	s_waitcnt lgkmcnt(0)
	s_barrier
	s_and_saveexec_b64 s[0:1], vcc
	s_cbranch_execz .LBB3_4
; %bb.1:
	v_lshlrev_b32_e32 v11, 2, v6
	v_lshl_add_u32 v11, v2, 2, v11
	s_mov_b64 s[2:3], 0
.LBB3_2:                                ; =>This Inner Loop Header: Depth=1
	v_sub_u32_e32 v12, v10, v9
	v_lshrrev_b32_e32 v12, 1, v12
	v_add_u32_e32 v12, v12, v9
	v_not_b32_e32 v14, v12
	v_lshl_add_u32 v13, v12, 2, v7
	v_lshl_add_u32 v14, v14, 2, v11
	ds_read_b32 v13, v13
	ds_read_b32 v14, v14
	v_add_u32_e32 v15, 1, v12
	s_waitcnt lgkmcnt(0)
	v_cmp_lt_i32_e32 vcc, v14, v13
	v_cndmask_b32_e32 v10, v10, v12, vcc
	v_cndmask_b32_e32 v9, v15, v9, vcc
	v_cmp_ge_i32_e32 vcc, v9, v10
	s_or_b64 s[2:3], vcc, s[2:3]
	s_andn2_b64 exec, exec, s[2:3]
	s_cbranch_execnz .LBB3_2
; %bb.3:
	s_or_b64 exec, exec, s[2:3]
.LBB3_4:
	s_or_b64 exec, exec, s[0:1]
	v_add_u32_e32 v6, v2, v6
	v_sub_u32_e32 v10, v6, v9
	v_lshl_add_u32 v13, v9, 2, v7
	v_lshlrev_b32_e32 v12, 2, v10
	ds_read_b32 v6, v13
	ds_read_b32 v7, v12
	v_add_u32_e32 v11, v9, v8
	v_cmp_le_i32_e64 s[0:1], v2, v11
	v_cmp_gt_i32_e32 vcc, v3, v10
                                        ; implicit-def: $vgpr8
	s_waitcnt lgkmcnt(0)
	v_cmp_lt_i32_e64 s[2:3], v7, v6
	s_or_b64 s[0:1], s[0:1], s[2:3]
	s_and_b64 vcc, vcc, s[0:1]
	s_xor_b64 s[0:1], vcc, -1
	s_and_saveexec_b64 s[2:3], s[0:1]
	s_xor_b64 s[0:1], exec, s[2:3]
; %bb.5:
	ds_read_b32 v8, v13 offset:4
                                        ; implicit-def: $vgpr12
; %bb.6:
	s_or_saveexec_b64 s[0:1], s[0:1]
	v_mov_b32_e32 v9, v7
	s_xor_b64 exec, exec, s[0:1]
	s_cbranch_execz .LBB3_8
; %bb.7:
	ds_read_b32 v9, v12 offset:4
	s_waitcnt lgkmcnt(1)
	v_mov_b32_e32 v8, v6
.LBB3_8:
	s_or_b64 exec, exec, s[0:1]
	v_add_u32_e32 v13, 1, v11
	v_add_u32_e32 v12, 1, v10
	v_cndmask_b32_e32 v13, v13, v11, vcc
	v_cndmask_b32_e32 v12, v10, v12, vcc
	v_cmp_ge_i32_e64 s[2:3], v13, v2
	s_waitcnt lgkmcnt(0)
	v_cmp_lt_i32_e64 s[4:5], v9, v8
	v_cmp_lt_i32_e64 s[0:1], v12, v3
	s_or_b64 s[2:3], s[2:3], s[4:5]
	s_and_b64 s[0:1], s[0:1], s[2:3]
	s_xor_b64 s[2:3], s[0:1], -1
                                        ; implicit-def: $vgpr10
	s_and_saveexec_b64 s[4:5], s[2:3]
	s_xor_b64 s[2:3], exec, s[4:5]
; %bb.9:
	v_lshlrev_b32_e32 v10, 2, v13
	ds_read_b32 v10, v10 offset:4
; %bb.10:
	s_or_saveexec_b64 s[2:3], s[2:3]
	v_mov_b32_e32 v11, v9
	s_xor_b64 exec, exec, s[2:3]
	s_cbranch_execz .LBB3_12
; %bb.11:
	s_waitcnt lgkmcnt(0)
	v_lshlrev_b32_e32 v10, 2, v12
	ds_read_b32 v11, v10 offset:4
	v_mov_b32_e32 v10, v8
.LBB3_12:
	s_or_b64 exec, exec, s[2:3]
	v_add_u32_e32 v15, 1, v13
	v_add_u32_e32 v14, 1, v12
	v_cndmask_b32_e64 v13, v15, v13, s[0:1]
	v_cndmask_b32_e64 v12, v12, v14, s[0:1]
	v_cmp_ge_i32_e64 s[4:5], v13, v2
	s_waitcnt lgkmcnt(0)
	v_cmp_lt_i32_e64 s[6:7], v11, v10
	v_cmp_lt_i32_e64 s[2:3], v12, v3
	s_or_b64 s[4:5], s[4:5], s[6:7]
	s_and_b64 s[2:3], s[2:3], s[4:5]
	s_xor_b64 s[4:5], s[2:3], -1
                                        ; implicit-def: $vgpr14
	s_and_saveexec_b64 s[6:7], s[4:5]
	s_xor_b64 s[4:5], exec, s[6:7]
; %bb.13:
	v_lshlrev_b32_e32 v14, 2, v13
	ds_read_b32 v14, v14 offset:4
; %bb.14:
	s_or_saveexec_b64 s[4:5], s[4:5]
	v_mov_b32_e32 v15, v11
	s_xor_b64 exec, exec, s[4:5]
	s_cbranch_execz .LBB3_16
; %bb.15:
	s_waitcnt lgkmcnt(0)
	v_lshlrev_b32_e32 v14, 2, v12
	ds_read_b32 v15, v14 offset:4
	v_mov_b32_e32 v14, v10
.LBB3_16:
	s_or_b64 exec, exec, s[4:5]
	v_cndmask_b32_e64 v10, v10, v11, s[2:3]
	v_add_u32_e32 v11, 1, v12
	v_add_u32_e32 v16, 1, v13
	v_cndmask_b32_e64 v11, v12, v11, s[2:3]
	v_cndmask_b32_e64 v12, v16, v13, s[2:3]
	;; [unrolled: 1-line block ×3, first 2 shown]
	v_cmp_ge_i32_e64 s[0:1], v12, v2
	s_waitcnt lgkmcnt(0)
	v_cmp_lt_i32_e64 s[2:3], v15, v14
	v_cndmask_b32_e32 v6, v6, v7, vcc
	v_cmp_lt_i32_e32 vcc, v11, v3
	s_or_b64 s[0:1], s[0:1], s[2:3]
	s_and_b64 vcc, vcc, s[0:1]
	v_cndmask_b32_e32 v2, v14, v15, vcc
	s_barrier
	ds_write2_b32 v1, v6, v8 offset1:1
	ds_write2_b32 v1, v10, v2 offset0:2 offset1:3
	v_and_b32_e32 v8, 0x1f0, v0
	v_or_b32_e32 v2, 8, v8
	v_add_u32_e32 v3, 16, v8
	v_and_b32_e32 v6, 12, v0
	v_sub_u32_e32 v9, v3, v2
	v_sub_u32_e32 v10, v2, v8
	;; [unrolled: 1-line block ×3, first 2 shown]
	v_cmp_ge_i32_e32 vcc, v6, v9
	v_cndmask_b32_e32 v9, 0, v11, vcc
	v_min_i32_e32 v10, v6, v10
	v_lshlrev_b32_e32 v7, 2, v8
	v_cmp_lt_i32_e32 vcc, v9, v10
	s_waitcnt lgkmcnt(0)
	s_barrier
	s_and_saveexec_b64 s[0:1], vcc
	s_cbranch_execz .LBB3_20
; %bb.17:
	v_lshlrev_b32_e32 v11, 2, v6
	v_lshl_add_u32 v11, v2, 2, v11
	s_mov_b64 s[2:3], 0
.LBB3_18:                               ; =>This Inner Loop Header: Depth=1
	v_sub_u32_e32 v12, v10, v9
	v_lshrrev_b32_e32 v12, 1, v12
	v_add_u32_e32 v12, v12, v9
	v_not_b32_e32 v14, v12
	v_lshl_add_u32 v13, v12, 2, v7
	v_lshl_add_u32 v14, v14, 2, v11
	ds_read_b32 v13, v13
	ds_read_b32 v14, v14
	v_add_u32_e32 v15, 1, v12
	s_waitcnt lgkmcnt(0)
	v_cmp_lt_i32_e32 vcc, v14, v13
	v_cndmask_b32_e32 v10, v10, v12, vcc
	v_cndmask_b32_e32 v9, v15, v9, vcc
	v_cmp_ge_i32_e32 vcc, v9, v10
	s_or_b64 s[2:3], vcc, s[2:3]
	s_andn2_b64 exec, exec, s[2:3]
	s_cbranch_execnz .LBB3_18
; %bb.19:
	s_or_b64 exec, exec, s[2:3]
.LBB3_20:
	s_or_b64 exec, exec, s[0:1]
	v_add_u32_e32 v6, v2, v6
	v_sub_u32_e32 v10, v6, v9
	v_lshl_add_u32 v13, v9, 2, v7
	v_lshlrev_b32_e32 v12, 2, v10
	ds_read_b32 v6, v13
	ds_read_b32 v7, v12
	v_add_u32_e32 v11, v9, v8
	v_cmp_le_i32_e64 s[0:1], v2, v11
	v_cmp_gt_i32_e32 vcc, v3, v10
                                        ; implicit-def: $vgpr8
	s_waitcnt lgkmcnt(0)
	v_cmp_lt_i32_e64 s[2:3], v7, v6
	s_or_b64 s[0:1], s[0:1], s[2:3]
	s_and_b64 vcc, vcc, s[0:1]
	s_xor_b64 s[0:1], vcc, -1
	s_and_saveexec_b64 s[2:3], s[0:1]
	s_xor_b64 s[0:1], exec, s[2:3]
; %bb.21:
	ds_read_b32 v8, v13 offset:4
                                        ; implicit-def: $vgpr12
; %bb.22:
	s_or_saveexec_b64 s[0:1], s[0:1]
	v_mov_b32_e32 v9, v7
	s_xor_b64 exec, exec, s[0:1]
	s_cbranch_execz .LBB3_24
; %bb.23:
	ds_read_b32 v9, v12 offset:4
	s_waitcnt lgkmcnt(1)
	v_mov_b32_e32 v8, v6
.LBB3_24:
	s_or_b64 exec, exec, s[0:1]
	v_add_u32_e32 v13, 1, v11
	v_add_u32_e32 v12, 1, v10
	v_cndmask_b32_e32 v13, v13, v11, vcc
	v_cndmask_b32_e32 v12, v10, v12, vcc
	v_cmp_ge_i32_e64 s[2:3], v13, v2
	s_waitcnt lgkmcnt(0)
	v_cmp_lt_i32_e64 s[4:5], v9, v8
	v_cmp_lt_i32_e64 s[0:1], v12, v3
	s_or_b64 s[2:3], s[2:3], s[4:5]
	s_and_b64 s[0:1], s[0:1], s[2:3]
	s_xor_b64 s[2:3], s[0:1], -1
                                        ; implicit-def: $vgpr10
	s_and_saveexec_b64 s[4:5], s[2:3]
	s_xor_b64 s[2:3], exec, s[4:5]
; %bb.25:
	v_lshlrev_b32_e32 v10, 2, v13
	ds_read_b32 v10, v10 offset:4
; %bb.26:
	s_or_saveexec_b64 s[2:3], s[2:3]
	v_mov_b32_e32 v11, v9
	s_xor_b64 exec, exec, s[2:3]
	s_cbranch_execz .LBB3_28
; %bb.27:
	s_waitcnt lgkmcnt(0)
	v_lshlrev_b32_e32 v10, 2, v12
	ds_read_b32 v11, v10 offset:4
	v_mov_b32_e32 v10, v8
.LBB3_28:
	s_or_b64 exec, exec, s[2:3]
	v_add_u32_e32 v15, 1, v13
	v_add_u32_e32 v14, 1, v12
	v_cndmask_b32_e64 v13, v15, v13, s[0:1]
	v_cndmask_b32_e64 v12, v12, v14, s[0:1]
	v_cmp_ge_i32_e64 s[4:5], v13, v2
	s_waitcnt lgkmcnt(0)
	v_cmp_lt_i32_e64 s[6:7], v11, v10
	v_cmp_lt_i32_e64 s[2:3], v12, v3
	s_or_b64 s[4:5], s[4:5], s[6:7]
	s_and_b64 s[2:3], s[2:3], s[4:5]
	s_xor_b64 s[4:5], s[2:3], -1
                                        ; implicit-def: $vgpr14
	s_and_saveexec_b64 s[6:7], s[4:5]
	s_xor_b64 s[4:5], exec, s[6:7]
; %bb.29:
	v_lshlrev_b32_e32 v14, 2, v13
	ds_read_b32 v14, v14 offset:4
; %bb.30:
	s_or_saveexec_b64 s[4:5], s[4:5]
	v_mov_b32_e32 v15, v11
	s_xor_b64 exec, exec, s[4:5]
	s_cbranch_execz .LBB3_32
; %bb.31:
	s_waitcnt lgkmcnt(0)
	v_lshlrev_b32_e32 v14, 2, v12
	ds_read_b32 v15, v14 offset:4
	v_mov_b32_e32 v14, v10
.LBB3_32:
	s_or_b64 exec, exec, s[4:5]
	v_cndmask_b32_e64 v10, v10, v11, s[2:3]
	v_add_u32_e32 v11, 1, v12
	v_add_u32_e32 v16, 1, v13
	v_cndmask_b32_e64 v11, v12, v11, s[2:3]
	v_cndmask_b32_e64 v12, v16, v13, s[2:3]
	v_cndmask_b32_e64 v8, v8, v9, s[0:1]
	v_cmp_ge_i32_e64 s[0:1], v12, v2
	s_waitcnt lgkmcnt(0)
	v_cmp_lt_i32_e64 s[2:3], v15, v14
	v_cndmask_b32_e32 v6, v6, v7, vcc
	v_cmp_lt_i32_e32 vcc, v11, v3
	s_or_b64 s[0:1], s[0:1], s[2:3]
	s_and_b64 vcc, vcc, s[0:1]
	v_cndmask_b32_e32 v2, v14, v15, vcc
	s_barrier
	ds_write2_b32 v1, v6, v8 offset1:1
	ds_write2_b32 v1, v10, v2 offset0:2 offset1:3
	v_and_b32_e32 v8, 0x1e0, v0
	v_or_b32_e32 v2, 16, v8
	v_add_u32_e32 v3, 32, v8
	v_and_b32_e32 v6, 28, v0
	v_sub_u32_e32 v9, v3, v2
	v_sub_u32_e32 v10, v2, v8
	;; [unrolled: 1-line block ×3, first 2 shown]
	v_cmp_ge_i32_e32 vcc, v6, v9
	v_cndmask_b32_e32 v9, 0, v11, vcc
	v_min_i32_e32 v10, v6, v10
	v_lshlrev_b32_e32 v7, 2, v8
	v_cmp_lt_i32_e32 vcc, v9, v10
	s_waitcnt lgkmcnt(0)
	s_barrier
	s_and_saveexec_b64 s[0:1], vcc
	s_cbranch_execz .LBB3_36
; %bb.33:
	v_lshlrev_b32_e32 v11, 2, v6
	v_lshl_add_u32 v11, v2, 2, v11
	s_mov_b64 s[2:3], 0
.LBB3_34:                               ; =>This Inner Loop Header: Depth=1
	v_sub_u32_e32 v12, v10, v9
	v_lshrrev_b32_e32 v12, 1, v12
	v_add_u32_e32 v12, v12, v9
	v_not_b32_e32 v14, v12
	v_lshl_add_u32 v13, v12, 2, v7
	v_lshl_add_u32 v14, v14, 2, v11
	ds_read_b32 v13, v13
	ds_read_b32 v14, v14
	v_add_u32_e32 v15, 1, v12
	s_waitcnt lgkmcnt(0)
	v_cmp_lt_i32_e32 vcc, v14, v13
	v_cndmask_b32_e32 v10, v10, v12, vcc
	v_cndmask_b32_e32 v9, v15, v9, vcc
	v_cmp_ge_i32_e32 vcc, v9, v10
	s_or_b64 s[2:3], vcc, s[2:3]
	s_andn2_b64 exec, exec, s[2:3]
	s_cbranch_execnz .LBB3_34
; %bb.35:
	s_or_b64 exec, exec, s[2:3]
.LBB3_36:
	s_or_b64 exec, exec, s[0:1]
	v_add_u32_e32 v6, v2, v6
	v_sub_u32_e32 v10, v6, v9
	v_lshl_add_u32 v13, v9, 2, v7
	v_lshlrev_b32_e32 v12, 2, v10
	ds_read_b32 v6, v13
	ds_read_b32 v7, v12
	v_add_u32_e32 v11, v9, v8
	v_cmp_le_i32_e64 s[0:1], v2, v11
	v_cmp_gt_i32_e32 vcc, v3, v10
                                        ; implicit-def: $vgpr8
	s_waitcnt lgkmcnt(0)
	v_cmp_lt_i32_e64 s[2:3], v7, v6
	s_or_b64 s[0:1], s[0:1], s[2:3]
	s_and_b64 vcc, vcc, s[0:1]
	s_xor_b64 s[0:1], vcc, -1
	s_and_saveexec_b64 s[2:3], s[0:1]
	s_xor_b64 s[0:1], exec, s[2:3]
; %bb.37:
	ds_read_b32 v8, v13 offset:4
                                        ; implicit-def: $vgpr12
; %bb.38:
	s_or_saveexec_b64 s[0:1], s[0:1]
	v_mov_b32_e32 v9, v7
	s_xor_b64 exec, exec, s[0:1]
	s_cbranch_execz .LBB3_40
; %bb.39:
	ds_read_b32 v9, v12 offset:4
	s_waitcnt lgkmcnt(1)
	v_mov_b32_e32 v8, v6
.LBB3_40:
	s_or_b64 exec, exec, s[0:1]
	v_add_u32_e32 v13, 1, v11
	v_add_u32_e32 v12, 1, v10
	v_cndmask_b32_e32 v13, v13, v11, vcc
	v_cndmask_b32_e32 v12, v10, v12, vcc
	v_cmp_ge_i32_e64 s[2:3], v13, v2
	s_waitcnt lgkmcnt(0)
	v_cmp_lt_i32_e64 s[4:5], v9, v8
	v_cmp_lt_i32_e64 s[0:1], v12, v3
	s_or_b64 s[2:3], s[2:3], s[4:5]
	s_and_b64 s[0:1], s[0:1], s[2:3]
	s_xor_b64 s[2:3], s[0:1], -1
                                        ; implicit-def: $vgpr10
	s_and_saveexec_b64 s[4:5], s[2:3]
	s_xor_b64 s[2:3], exec, s[4:5]
; %bb.41:
	v_lshlrev_b32_e32 v10, 2, v13
	ds_read_b32 v10, v10 offset:4
; %bb.42:
	s_or_saveexec_b64 s[2:3], s[2:3]
	v_mov_b32_e32 v11, v9
	s_xor_b64 exec, exec, s[2:3]
	s_cbranch_execz .LBB3_44
; %bb.43:
	s_waitcnt lgkmcnt(0)
	v_lshlrev_b32_e32 v10, 2, v12
	ds_read_b32 v11, v10 offset:4
	v_mov_b32_e32 v10, v8
.LBB3_44:
	s_or_b64 exec, exec, s[2:3]
	v_add_u32_e32 v15, 1, v13
	v_add_u32_e32 v14, 1, v12
	v_cndmask_b32_e64 v13, v15, v13, s[0:1]
	v_cndmask_b32_e64 v12, v12, v14, s[0:1]
	v_cmp_ge_i32_e64 s[4:5], v13, v2
	s_waitcnt lgkmcnt(0)
	v_cmp_lt_i32_e64 s[6:7], v11, v10
	v_cmp_lt_i32_e64 s[2:3], v12, v3
	s_or_b64 s[4:5], s[4:5], s[6:7]
	s_and_b64 s[2:3], s[2:3], s[4:5]
	s_xor_b64 s[4:5], s[2:3], -1
                                        ; implicit-def: $vgpr14
	s_and_saveexec_b64 s[6:7], s[4:5]
	s_xor_b64 s[4:5], exec, s[6:7]
; %bb.45:
	v_lshlrev_b32_e32 v14, 2, v13
	ds_read_b32 v14, v14 offset:4
; %bb.46:
	s_or_saveexec_b64 s[4:5], s[4:5]
	v_mov_b32_e32 v15, v11
	s_xor_b64 exec, exec, s[4:5]
	s_cbranch_execz .LBB3_48
; %bb.47:
	s_waitcnt lgkmcnt(0)
	v_lshlrev_b32_e32 v14, 2, v12
	ds_read_b32 v15, v14 offset:4
	v_mov_b32_e32 v14, v10
.LBB3_48:
	s_or_b64 exec, exec, s[4:5]
	v_cndmask_b32_e64 v10, v10, v11, s[2:3]
	v_add_u32_e32 v11, 1, v12
	v_add_u32_e32 v16, 1, v13
	v_cndmask_b32_e64 v11, v12, v11, s[2:3]
	v_cndmask_b32_e64 v12, v16, v13, s[2:3]
	;; [unrolled: 1-line block ×3, first 2 shown]
	v_cmp_ge_i32_e64 s[0:1], v12, v2
	s_waitcnt lgkmcnt(0)
	v_cmp_lt_i32_e64 s[2:3], v15, v14
	v_cndmask_b32_e32 v6, v6, v7, vcc
	v_cmp_lt_i32_e32 vcc, v11, v3
	s_or_b64 s[0:1], s[0:1], s[2:3]
	s_and_b64 vcc, vcc, s[0:1]
	v_cndmask_b32_e32 v2, v14, v15, vcc
	s_barrier
	ds_write2_b32 v1, v6, v8 offset1:1
	ds_write2_b32 v1, v10, v2 offset0:2 offset1:3
	v_and_b32_e32 v8, 0x1c0, v0
	v_or_b32_e32 v2, 32, v8
	v_add_u32_e32 v3, 64, v8
	v_and_b32_e32 v6, 60, v0
	v_sub_u32_e32 v9, v3, v2
	v_sub_u32_e32 v10, v2, v8
	;; [unrolled: 1-line block ×3, first 2 shown]
	v_cmp_ge_i32_e32 vcc, v6, v9
	v_cndmask_b32_e32 v9, 0, v11, vcc
	v_min_i32_e32 v10, v6, v10
	v_lshlrev_b32_e32 v7, 2, v8
	v_cmp_lt_i32_e32 vcc, v9, v10
	s_waitcnt lgkmcnt(0)
	s_barrier
	s_and_saveexec_b64 s[0:1], vcc
	s_cbranch_execz .LBB3_52
; %bb.49:
	v_lshlrev_b32_e32 v11, 2, v6
	v_lshl_add_u32 v11, v2, 2, v11
	s_mov_b64 s[2:3], 0
.LBB3_50:                               ; =>This Inner Loop Header: Depth=1
	v_sub_u32_e32 v12, v10, v9
	v_lshrrev_b32_e32 v12, 1, v12
	v_add_u32_e32 v12, v12, v9
	v_not_b32_e32 v14, v12
	v_lshl_add_u32 v13, v12, 2, v7
	v_lshl_add_u32 v14, v14, 2, v11
	ds_read_b32 v13, v13
	ds_read_b32 v14, v14
	v_add_u32_e32 v15, 1, v12
	s_waitcnt lgkmcnt(0)
	v_cmp_lt_i32_e32 vcc, v14, v13
	v_cndmask_b32_e32 v10, v10, v12, vcc
	v_cndmask_b32_e32 v9, v15, v9, vcc
	v_cmp_ge_i32_e32 vcc, v9, v10
	s_or_b64 s[2:3], vcc, s[2:3]
	s_andn2_b64 exec, exec, s[2:3]
	s_cbranch_execnz .LBB3_50
; %bb.51:
	s_or_b64 exec, exec, s[2:3]
.LBB3_52:
	s_or_b64 exec, exec, s[0:1]
	v_add_u32_e32 v6, v2, v6
	v_sub_u32_e32 v10, v6, v9
	v_lshl_add_u32 v13, v9, 2, v7
	v_lshlrev_b32_e32 v12, 2, v10
	ds_read_b32 v6, v13
	ds_read_b32 v7, v12
	v_add_u32_e32 v11, v9, v8
	v_cmp_le_i32_e64 s[0:1], v2, v11
	v_cmp_gt_i32_e32 vcc, v3, v10
                                        ; implicit-def: $vgpr8
	s_waitcnt lgkmcnt(0)
	v_cmp_lt_i32_e64 s[2:3], v7, v6
	s_or_b64 s[0:1], s[0:1], s[2:3]
	s_and_b64 vcc, vcc, s[0:1]
	s_xor_b64 s[0:1], vcc, -1
	s_and_saveexec_b64 s[2:3], s[0:1]
	s_xor_b64 s[0:1], exec, s[2:3]
; %bb.53:
	ds_read_b32 v8, v13 offset:4
                                        ; implicit-def: $vgpr12
; %bb.54:
	s_or_saveexec_b64 s[0:1], s[0:1]
	v_mov_b32_e32 v9, v7
	s_xor_b64 exec, exec, s[0:1]
	s_cbranch_execz .LBB3_56
; %bb.55:
	ds_read_b32 v9, v12 offset:4
	s_waitcnt lgkmcnt(1)
	v_mov_b32_e32 v8, v6
.LBB3_56:
	s_or_b64 exec, exec, s[0:1]
	v_add_u32_e32 v13, 1, v11
	v_add_u32_e32 v12, 1, v10
	v_cndmask_b32_e32 v13, v13, v11, vcc
	v_cndmask_b32_e32 v12, v10, v12, vcc
	v_cmp_ge_i32_e64 s[2:3], v13, v2
	s_waitcnt lgkmcnt(0)
	v_cmp_lt_i32_e64 s[4:5], v9, v8
	v_cmp_lt_i32_e64 s[0:1], v12, v3
	s_or_b64 s[2:3], s[2:3], s[4:5]
	s_and_b64 s[0:1], s[0:1], s[2:3]
	s_xor_b64 s[2:3], s[0:1], -1
                                        ; implicit-def: $vgpr10
	s_and_saveexec_b64 s[4:5], s[2:3]
	s_xor_b64 s[2:3], exec, s[4:5]
; %bb.57:
	v_lshlrev_b32_e32 v10, 2, v13
	ds_read_b32 v10, v10 offset:4
; %bb.58:
	s_or_saveexec_b64 s[2:3], s[2:3]
	v_mov_b32_e32 v11, v9
	s_xor_b64 exec, exec, s[2:3]
	s_cbranch_execz .LBB3_60
; %bb.59:
	s_waitcnt lgkmcnt(0)
	v_lshlrev_b32_e32 v10, 2, v12
	ds_read_b32 v11, v10 offset:4
	v_mov_b32_e32 v10, v8
.LBB3_60:
	s_or_b64 exec, exec, s[2:3]
	v_add_u32_e32 v15, 1, v13
	v_add_u32_e32 v14, 1, v12
	v_cndmask_b32_e64 v13, v15, v13, s[0:1]
	v_cndmask_b32_e64 v12, v12, v14, s[0:1]
	v_cmp_ge_i32_e64 s[4:5], v13, v2
	s_waitcnt lgkmcnt(0)
	v_cmp_lt_i32_e64 s[6:7], v11, v10
	v_cmp_lt_i32_e64 s[2:3], v12, v3
	s_or_b64 s[4:5], s[4:5], s[6:7]
	s_and_b64 s[2:3], s[2:3], s[4:5]
	s_xor_b64 s[4:5], s[2:3], -1
                                        ; implicit-def: $vgpr14
	s_and_saveexec_b64 s[6:7], s[4:5]
	s_xor_b64 s[4:5], exec, s[6:7]
; %bb.61:
	v_lshlrev_b32_e32 v14, 2, v13
	ds_read_b32 v14, v14 offset:4
; %bb.62:
	s_or_saveexec_b64 s[4:5], s[4:5]
	v_mov_b32_e32 v15, v11
	s_xor_b64 exec, exec, s[4:5]
	s_cbranch_execz .LBB3_64
; %bb.63:
	s_waitcnt lgkmcnt(0)
	v_lshlrev_b32_e32 v14, 2, v12
	ds_read_b32 v15, v14 offset:4
	v_mov_b32_e32 v14, v10
.LBB3_64:
	s_or_b64 exec, exec, s[4:5]
	v_cndmask_b32_e64 v10, v10, v11, s[2:3]
	v_add_u32_e32 v11, 1, v12
	v_add_u32_e32 v16, 1, v13
	v_cndmask_b32_e64 v11, v12, v11, s[2:3]
	v_cndmask_b32_e64 v12, v16, v13, s[2:3]
	v_cndmask_b32_e64 v8, v8, v9, s[0:1]
	v_cmp_ge_i32_e64 s[0:1], v12, v2
	s_waitcnt lgkmcnt(0)
	v_cmp_lt_i32_e64 s[2:3], v15, v14
	v_cndmask_b32_e32 v6, v6, v7, vcc
	v_cmp_lt_i32_e32 vcc, v11, v3
	s_or_b64 s[0:1], s[0:1], s[2:3]
	s_and_b64 vcc, vcc, s[0:1]
	v_cndmask_b32_e32 v2, v14, v15, vcc
	s_barrier
	ds_write2_b32 v1, v6, v8 offset1:1
	ds_write2_b32 v1, v10, v2 offset0:2 offset1:3
	v_and_b32_e32 v8, 0x180, v0
	v_or_b32_e32 v2, 64, v8
	v_add_u32_e32 v3, 0x80, v8
	v_and_b32_e32 v6, 0x7c, v0
	v_sub_u32_e32 v9, v3, v2
	v_sub_u32_e32 v10, v2, v8
	;; [unrolled: 1-line block ×3, first 2 shown]
	v_cmp_ge_i32_e32 vcc, v6, v9
	v_cndmask_b32_e32 v9, 0, v11, vcc
	v_min_i32_e32 v10, v6, v10
	v_lshlrev_b32_e32 v7, 2, v8
	v_cmp_lt_i32_e32 vcc, v9, v10
	s_waitcnt lgkmcnt(0)
	s_barrier
	s_and_saveexec_b64 s[0:1], vcc
	s_cbranch_execz .LBB3_68
; %bb.65:
	v_lshlrev_b32_e32 v11, 2, v6
	v_lshl_add_u32 v11, v2, 2, v11
	s_mov_b64 s[2:3], 0
.LBB3_66:                               ; =>This Inner Loop Header: Depth=1
	v_sub_u32_e32 v12, v10, v9
	v_lshrrev_b32_e32 v12, 1, v12
	v_add_u32_e32 v12, v12, v9
	v_not_b32_e32 v14, v12
	v_lshl_add_u32 v13, v12, 2, v7
	v_lshl_add_u32 v14, v14, 2, v11
	ds_read_b32 v13, v13
	ds_read_b32 v14, v14
	v_add_u32_e32 v15, 1, v12
	s_waitcnt lgkmcnt(0)
	v_cmp_lt_i32_e32 vcc, v14, v13
	v_cndmask_b32_e32 v10, v10, v12, vcc
	v_cndmask_b32_e32 v9, v15, v9, vcc
	v_cmp_ge_i32_e32 vcc, v9, v10
	s_or_b64 s[2:3], vcc, s[2:3]
	s_andn2_b64 exec, exec, s[2:3]
	s_cbranch_execnz .LBB3_66
; %bb.67:
	s_or_b64 exec, exec, s[2:3]
.LBB3_68:
	s_or_b64 exec, exec, s[0:1]
	v_add_u32_e32 v6, v2, v6
	v_sub_u32_e32 v10, v6, v9
	v_lshl_add_u32 v13, v9, 2, v7
	v_lshlrev_b32_e32 v12, 2, v10
	ds_read_b32 v6, v13
	ds_read_b32 v7, v12
	v_add_u32_e32 v11, v9, v8
	v_cmp_le_i32_e64 s[0:1], v2, v11
	v_cmp_gt_i32_e32 vcc, v3, v10
                                        ; implicit-def: $vgpr8
	s_waitcnt lgkmcnt(0)
	v_cmp_lt_i32_e64 s[2:3], v7, v6
	s_or_b64 s[0:1], s[0:1], s[2:3]
	s_and_b64 vcc, vcc, s[0:1]
	s_xor_b64 s[0:1], vcc, -1
	s_and_saveexec_b64 s[2:3], s[0:1]
	s_xor_b64 s[0:1], exec, s[2:3]
; %bb.69:
	ds_read_b32 v8, v13 offset:4
                                        ; implicit-def: $vgpr12
; %bb.70:
	s_or_saveexec_b64 s[0:1], s[0:1]
	v_mov_b32_e32 v9, v7
	s_xor_b64 exec, exec, s[0:1]
	s_cbranch_execz .LBB3_72
; %bb.71:
	ds_read_b32 v9, v12 offset:4
	s_waitcnt lgkmcnt(1)
	v_mov_b32_e32 v8, v6
.LBB3_72:
	s_or_b64 exec, exec, s[0:1]
	v_add_u32_e32 v13, 1, v11
	v_add_u32_e32 v12, 1, v10
	v_cndmask_b32_e32 v13, v13, v11, vcc
	v_cndmask_b32_e32 v12, v10, v12, vcc
	v_cmp_ge_i32_e64 s[2:3], v13, v2
	s_waitcnt lgkmcnt(0)
	v_cmp_lt_i32_e64 s[4:5], v9, v8
	v_cmp_lt_i32_e64 s[0:1], v12, v3
	s_or_b64 s[2:3], s[2:3], s[4:5]
	s_and_b64 s[0:1], s[0:1], s[2:3]
	s_xor_b64 s[2:3], s[0:1], -1
                                        ; implicit-def: $vgpr10
	s_and_saveexec_b64 s[4:5], s[2:3]
	s_xor_b64 s[2:3], exec, s[4:5]
; %bb.73:
	v_lshlrev_b32_e32 v10, 2, v13
	ds_read_b32 v10, v10 offset:4
; %bb.74:
	s_or_saveexec_b64 s[2:3], s[2:3]
	v_mov_b32_e32 v11, v9
	s_xor_b64 exec, exec, s[2:3]
	s_cbranch_execz .LBB3_76
; %bb.75:
	s_waitcnt lgkmcnt(0)
	v_lshlrev_b32_e32 v10, 2, v12
	ds_read_b32 v11, v10 offset:4
	v_mov_b32_e32 v10, v8
.LBB3_76:
	s_or_b64 exec, exec, s[2:3]
	v_add_u32_e32 v15, 1, v13
	v_add_u32_e32 v14, 1, v12
	v_cndmask_b32_e64 v13, v15, v13, s[0:1]
	v_cndmask_b32_e64 v12, v12, v14, s[0:1]
	v_cmp_ge_i32_e64 s[4:5], v13, v2
	s_waitcnt lgkmcnt(0)
	v_cmp_lt_i32_e64 s[6:7], v11, v10
	v_cmp_lt_i32_e64 s[2:3], v12, v3
	s_or_b64 s[4:5], s[4:5], s[6:7]
	s_and_b64 s[2:3], s[2:3], s[4:5]
	s_xor_b64 s[4:5], s[2:3], -1
                                        ; implicit-def: $vgpr14
	s_and_saveexec_b64 s[6:7], s[4:5]
	s_xor_b64 s[4:5], exec, s[6:7]
; %bb.77:
	v_lshlrev_b32_e32 v14, 2, v13
	ds_read_b32 v14, v14 offset:4
; %bb.78:
	s_or_saveexec_b64 s[4:5], s[4:5]
	v_mov_b32_e32 v15, v11
	s_xor_b64 exec, exec, s[4:5]
	s_cbranch_execz .LBB3_80
; %bb.79:
	s_waitcnt lgkmcnt(0)
	v_lshlrev_b32_e32 v14, 2, v12
	ds_read_b32 v15, v14 offset:4
	v_mov_b32_e32 v14, v10
.LBB3_80:
	s_or_b64 exec, exec, s[4:5]
	v_cndmask_b32_e64 v10, v10, v11, s[2:3]
	v_add_u32_e32 v11, 1, v12
	v_add_u32_e32 v16, 1, v13
	v_cndmask_b32_e64 v11, v12, v11, s[2:3]
	v_cndmask_b32_e64 v12, v16, v13, s[2:3]
	;; [unrolled: 1-line block ×3, first 2 shown]
	v_cmp_ge_i32_e64 s[0:1], v12, v2
	s_waitcnt lgkmcnt(0)
	v_cmp_lt_i32_e64 s[2:3], v15, v14
	v_cndmask_b32_e32 v6, v6, v7, vcc
	v_cmp_lt_i32_e32 vcc, v11, v3
	s_or_b64 s[0:1], s[0:1], s[2:3]
	s_and_b64 vcc, vcc, s[0:1]
	v_cndmask_b32_e32 v2, v14, v15, vcc
	s_barrier
	ds_write2_b32 v1, v6, v8 offset1:1
	ds_write2_b32 v1, v10, v2 offset0:2 offset1:3
	v_and_b32_e32 v8, 0x100, v0
	v_or_b32_e32 v2, 0x80, v8
	v_add_u32_e32 v3, 0x100, v8
	v_and_b32_e32 v6, 0xfc, v0
	v_sub_u32_e32 v9, v3, v2
	v_sub_u32_e32 v10, v2, v8
	;; [unrolled: 1-line block ×3, first 2 shown]
	v_cmp_ge_i32_e32 vcc, v6, v9
	v_cndmask_b32_e32 v9, 0, v11, vcc
	v_min_i32_e32 v10, v6, v10
	v_lshlrev_b32_e32 v7, 2, v8
	v_cmp_lt_i32_e32 vcc, v9, v10
	s_waitcnt lgkmcnt(0)
	s_barrier
	s_and_saveexec_b64 s[0:1], vcc
	s_cbranch_execz .LBB3_84
; %bb.81:
	v_lshlrev_b32_e32 v11, 2, v6
	v_lshl_add_u32 v11, v2, 2, v11
	s_mov_b64 s[2:3], 0
.LBB3_82:                               ; =>This Inner Loop Header: Depth=1
	v_sub_u32_e32 v12, v10, v9
	v_lshrrev_b32_e32 v12, 1, v12
	v_add_u32_e32 v12, v12, v9
	v_not_b32_e32 v14, v12
	v_lshl_add_u32 v13, v12, 2, v7
	v_lshl_add_u32 v14, v14, 2, v11
	ds_read_b32 v13, v13
	ds_read_b32 v14, v14
	v_add_u32_e32 v15, 1, v12
	s_waitcnt lgkmcnt(0)
	v_cmp_lt_i32_e32 vcc, v14, v13
	v_cndmask_b32_e32 v10, v10, v12, vcc
	v_cndmask_b32_e32 v9, v15, v9, vcc
	v_cmp_ge_i32_e32 vcc, v9, v10
	s_or_b64 s[2:3], vcc, s[2:3]
	s_andn2_b64 exec, exec, s[2:3]
	s_cbranch_execnz .LBB3_82
; %bb.83:
	s_or_b64 exec, exec, s[2:3]
.LBB3_84:
	s_or_b64 exec, exec, s[0:1]
	v_add_u32_e32 v6, v2, v6
	v_sub_u32_e32 v10, v6, v9
	v_lshl_add_u32 v13, v9, 2, v7
	v_lshlrev_b32_e32 v12, 2, v10
	ds_read_b32 v6, v13
	ds_read_b32 v7, v12
	v_add_u32_e32 v11, v9, v8
	v_cmp_le_i32_e64 s[0:1], v2, v11
	v_cmp_gt_i32_e32 vcc, v3, v10
                                        ; implicit-def: $vgpr8
	s_waitcnt lgkmcnt(0)
	v_cmp_lt_i32_e64 s[2:3], v7, v6
	s_or_b64 s[0:1], s[0:1], s[2:3]
	s_and_b64 vcc, vcc, s[0:1]
	s_xor_b64 s[0:1], vcc, -1
	s_and_saveexec_b64 s[2:3], s[0:1]
	s_xor_b64 s[0:1], exec, s[2:3]
; %bb.85:
	ds_read_b32 v8, v13 offset:4
                                        ; implicit-def: $vgpr12
; %bb.86:
	s_or_saveexec_b64 s[0:1], s[0:1]
	v_mov_b32_e32 v9, v7
	s_xor_b64 exec, exec, s[0:1]
	s_cbranch_execz .LBB3_88
; %bb.87:
	ds_read_b32 v9, v12 offset:4
	s_waitcnt lgkmcnt(1)
	v_mov_b32_e32 v8, v6
.LBB3_88:
	s_or_b64 exec, exec, s[0:1]
	v_add_u32_e32 v13, 1, v11
	v_add_u32_e32 v12, 1, v10
	v_cndmask_b32_e32 v13, v13, v11, vcc
	v_cndmask_b32_e32 v12, v10, v12, vcc
	v_cmp_ge_i32_e64 s[2:3], v13, v2
	s_waitcnt lgkmcnt(0)
	v_cmp_lt_i32_e64 s[4:5], v9, v8
	v_cmp_lt_i32_e64 s[0:1], v12, v3
	s_or_b64 s[2:3], s[2:3], s[4:5]
	s_and_b64 s[0:1], s[0:1], s[2:3]
	s_xor_b64 s[2:3], s[0:1], -1
                                        ; implicit-def: $vgpr10
	s_and_saveexec_b64 s[4:5], s[2:3]
	s_xor_b64 s[2:3], exec, s[4:5]
; %bb.89:
	v_lshlrev_b32_e32 v10, 2, v13
	ds_read_b32 v10, v10 offset:4
; %bb.90:
	s_or_saveexec_b64 s[2:3], s[2:3]
	v_mov_b32_e32 v11, v9
	s_xor_b64 exec, exec, s[2:3]
	s_cbranch_execz .LBB3_92
; %bb.91:
	s_waitcnt lgkmcnt(0)
	v_lshlrev_b32_e32 v10, 2, v12
	ds_read_b32 v11, v10 offset:4
	v_mov_b32_e32 v10, v8
.LBB3_92:
	s_or_b64 exec, exec, s[2:3]
	v_add_u32_e32 v15, 1, v13
	v_add_u32_e32 v14, 1, v12
	v_cndmask_b32_e64 v13, v15, v13, s[0:1]
	v_cndmask_b32_e64 v12, v12, v14, s[0:1]
	v_cmp_ge_i32_e64 s[4:5], v13, v2
	s_waitcnt lgkmcnt(0)
	v_cmp_lt_i32_e64 s[6:7], v11, v10
	v_cmp_lt_i32_e64 s[2:3], v12, v3
	s_or_b64 s[4:5], s[4:5], s[6:7]
	s_and_b64 s[2:3], s[2:3], s[4:5]
	s_xor_b64 s[4:5], s[2:3], -1
                                        ; implicit-def: $vgpr14
	s_and_saveexec_b64 s[6:7], s[4:5]
	s_xor_b64 s[4:5], exec, s[6:7]
; %bb.93:
	v_lshlrev_b32_e32 v14, 2, v13
	ds_read_b32 v14, v14 offset:4
; %bb.94:
	s_or_saveexec_b64 s[4:5], s[4:5]
	v_mov_b32_e32 v15, v11
	s_xor_b64 exec, exec, s[4:5]
	s_cbranch_execz .LBB3_96
; %bb.95:
	s_waitcnt lgkmcnt(0)
	v_lshlrev_b32_e32 v14, 2, v12
	ds_read_b32 v15, v14 offset:4
	v_mov_b32_e32 v14, v10
.LBB3_96:
	s_or_b64 exec, exec, s[4:5]
	v_cndmask_b32_e64 v10, v10, v11, s[2:3]
	v_add_u32_e32 v11, 1, v12
	v_add_u32_e32 v16, 1, v13
	v_cndmask_b32_e64 v11, v12, v11, s[2:3]
	v_cndmask_b32_e64 v12, v16, v13, s[2:3]
	;; [unrolled: 1-line block ×3, first 2 shown]
	v_cmp_ge_i32_e64 s[0:1], v12, v2
	s_waitcnt lgkmcnt(0)
	v_cmp_lt_i32_e64 s[2:3], v15, v14
	v_cndmask_b32_e32 v6, v6, v7, vcc
	v_cmp_lt_i32_e32 vcc, v11, v3
	s_or_b64 s[0:1], s[0:1], s[2:3]
	s_and_b64 vcc, vcc, s[0:1]
	v_cndmask_b32_e32 v2, v14, v15, vcc
	v_and_b32_e32 v0, 0x1fc, v0
	v_mov_b32_e32 v3, 0x100
	s_barrier
	ds_write2_b32 v1, v6, v8 offset1:1
	ds_write2_b32 v1, v10, v2 offset0:2 offset1:3
	v_sub_u32_e64 v2, v0, v3 clamp
	v_min_i32_e32 v1, 0x100, v0
	v_cmp_lt_i32_e32 vcc, v2, v1
	s_waitcnt lgkmcnt(0)
	s_barrier
	s_and_saveexec_b64 s[0:1], vcc
	s_cbranch_execz .LBB3_100
; %bb.97:
	v_lshlrev_b32_e32 v6, 2, v0
	v_lshl_add_u32 v6, v3, 2, v6
	s_mov_b64 s[2:3], 0
.LBB3_98:                               ; =>This Inner Loop Header: Depth=1
	v_sub_u32_e32 v7, v1, v2
	v_lshrrev_b32_e32 v7, 1, v7
	v_add_u32_e32 v7, v7, v2
	v_not_b32_e32 v9, v7
	v_lshlrev_b32_e32 v8, 2, v7
	v_lshl_add_u32 v9, v9, 2, v6
	ds_read_b32 v8, v8
	ds_read_b32 v9, v9
	v_add_u32_e32 v10, 1, v7
	s_waitcnt lgkmcnt(0)
	v_cmp_lt_i32_e32 vcc, v9, v8
	v_cndmask_b32_e32 v1, v1, v7, vcc
	v_cndmask_b32_e32 v2, v10, v2, vcc
	v_cmp_ge_i32_e32 vcc, v2, v1
	s_or_b64 s[2:3], vcc, s[2:3]
	s_andn2_b64 exec, exec, s[2:3]
	s_cbranch_execnz .LBB3_98
; %bb.99:
	s_or_b64 exec, exec, s[2:3]
.LBB3_100:
	s_or_b64 exec, exec, s[0:1]
	v_add_u32_e32 v0, 0x100, v0
	v_sub_u32_e32 v8, v0, v2
	v_lshlrev_b32_e32 v7, 2, v2
	v_lshlrev_b32_e32 v9, 2, v8
	ds_read_b32 v0, v7
	ds_read_b32 v6, v9
	s_movk_i32 s0, 0x200
	v_cmp_gt_i32_e32 vcc, s0, v8
	v_cmp_le_i32_e64 s[0:1], v3, v2
                                        ; implicit-def: $vgpr1
	s_waitcnt lgkmcnt(0)
	v_cmp_lt_i32_e64 s[2:3], v6, v0
	s_or_b64 s[0:1], s[0:1], s[2:3]
	s_and_b64 vcc, vcc, s[0:1]
	s_xor_b64 s[0:1], vcc, -1
	s_and_saveexec_b64 s[2:3], s[0:1]
	s_xor_b64 s[0:1], exec, s[2:3]
; %bb.101:
	ds_read_b32 v1, v7 offset:4
                                        ; implicit-def: $vgpr9
; %bb.102:
	s_or_saveexec_b64 s[0:1], s[0:1]
	v_mov_b32_e32 v7, v6
	s_xor_b64 exec, exec, s[0:1]
	s_cbranch_execz .LBB3_104
; %bb.103:
	ds_read_b32 v7, v9 offset:4
	s_waitcnt lgkmcnt(1)
	v_mov_b32_e32 v1, v0
.LBB3_104:
	s_or_b64 exec, exec, s[0:1]
	v_add_u32_e32 v11, 1, v2
	v_add_u32_e32 v9, 1, v8
	v_cndmask_b32_e32 v2, v11, v2, vcc
	v_cndmask_b32_e32 v10, v8, v9, vcc
	s_movk_i32 s0, 0x200
	v_cmp_ge_i32_e64 s[2:3], v2, v3
	s_waitcnt lgkmcnt(0)
	v_cmp_lt_i32_e64 s[4:5], v7, v1
	v_cmp_gt_i32_e64 s[0:1], s0, v10
	s_or_b64 s[2:3], s[2:3], s[4:5]
	s_and_b64 s[0:1], s[0:1], s[2:3]
	s_xor_b64 s[2:3], s[0:1], -1
                                        ; implicit-def: $vgpr8
	s_and_saveexec_b64 s[4:5], s[2:3]
	s_xor_b64 s[2:3], exec, s[4:5]
; %bb.105:
	v_lshlrev_b32_e32 v8, 2, v2
	ds_read_b32 v8, v8 offset:4
; %bb.106:
	s_or_saveexec_b64 s[2:3], s[2:3]
	v_mov_b32_e32 v9, v7
	s_xor_b64 exec, exec, s[2:3]
	s_cbranch_execz .LBB3_108
; %bb.107:
	s_waitcnt lgkmcnt(0)
	v_lshlrev_b32_e32 v8, 2, v10
	ds_read_b32 v9, v8 offset:4
	v_mov_b32_e32 v8, v1
.LBB3_108:
	s_or_b64 exec, exec, s[2:3]
	v_add_u32_e32 v12, 1, v2
	v_add_u32_e32 v11, 1, v10
	v_cndmask_b32_e64 v13, v12, v2, s[0:1]
	v_cndmask_b32_e64 v10, v10, v11, s[0:1]
	s_movk_i32 s2, 0x1ff
	v_cmp_lt_i32_e64 s[4:5], v13, v3
	s_waitcnt lgkmcnt(0)
	v_cmp_ge_i32_e64 s[6:7], v9, v8
	v_cmp_lt_i32_e64 s[2:3], s2, v10
	s_and_b64 s[4:5], s[4:5], s[6:7]
	s_or_b64 s[2:3], s[2:3], s[4:5]
                                        ; implicit-def: $vgpr11
                                        ; implicit-def: $vgpr12
	s_and_saveexec_b64 s[4:5], s[2:3]
	s_xor_b64 s[2:3], exec, s[4:5]
; %bb.109:
	v_lshlrev_b32_e32 v2, 2, v13
	ds_read_b32 v11, v2 offset:4
	v_add_u32_e32 v12, 1, v13
                                        ; implicit-def: $vgpr13
; %bb.110:
	s_or_saveexec_b64 s[2:3], s[2:3]
	v_mov_b32_e32 v2, v8
	s_xor_b64 exec, exec, s[2:3]
	s_cbranch_execz .LBB3_112
; %bb.111:
	v_lshlrev_b32_e32 v2, 2, v10
	ds_read_b32 v14, v2 offset:4
	s_waitcnt lgkmcnt(1)
	v_add_u32_e32 v11, 1, v10
	v_mov_b32_e32 v2, v9
	v_mov_b32_e32 v12, v13
	v_mov_b32_e32 v10, v11
	v_mov_b32_e32 v11, v8
	s_waitcnt lgkmcnt(0)
	v_mov_b32_e32 v9, v14
.LBB3_112:
	s_or_b64 exec, exec, s[2:3]
	v_cndmask_b32_e64 v1, v1, v7, s[0:1]
	s_movk_i32 s0, 0x200
	v_cndmask_b32_e32 v0, v0, v6, vcc
	v_cmp_gt_i32_e32 vcc, s0, v10
	v_cmp_ge_i32_e64 s[0:1], v12, v3
	s_waitcnt lgkmcnt(0)
	v_cmp_lt_i32_e64 s[2:3], v9, v11
	s_or_b64 s[0:1], s[0:1], s[2:3]
	s_and_b64 vcc, vcc, s[0:1]
	v_cndmask_b32_e32 v3, v11, v9, vcc
	global_store_dwordx4 v[4:5], v[0:3], off
	s_endpgm
	.section	.rodata,"a",@progbits
	.p2align	6, 0x0
	.amdhsa_kernel _Z15sort_key_kernelILj128ELj4EiN10test_utils4lessEEvPT1_T2_
		.amdhsa_group_segment_fixed_size 2052
		.amdhsa_private_segment_fixed_size 0
		.amdhsa_kernarg_size 12
		.amdhsa_user_sgpr_count 6
		.amdhsa_user_sgpr_private_segment_buffer 1
		.amdhsa_user_sgpr_dispatch_ptr 0
		.amdhsa_user_sgpr_queue_ptr 0
		.amdhsa_user_sgpr_kernarg_segment_ptr 1
		.amdhsa_user_sgpr_dispatch_id 0
		.amdhsa_user_sgpr_flat_scratch_init 0
		.amdhsa_user_sgpr_private_segment_size 0
		.amdhsa_uses_dynamic_stack 0
		.amdhsa_system_sgpr_private_segment_wavefront_offset 0
		.amdhsa_system_sgpr_workgroup_id_x 1
		.amdhsa_system_sgpr_workgroup_id_y 0
		.amdhsa_system_sgpr_workgroup_id_z 0
		.amdhsa_system_sgpr_workgroup_info 0
		.amdhsa_system_vgpr_workitem_id 0
		.amdhsa_next_free_vgpr 29
		.amdhsa_next_free_sgpr 61
		.amdhsa_reserve_vcc 1
		.amdhsa_reserve_flat_scratch 0
		.amdhsa_float_round_mode_32 0
		.amdhsa_float_round_mode_16_64 0
		.amdhsa_float_denorm_mode_32 3
		.amdhsa_float_denorm_mode_16_64 3
		.amdhsa_dx10_clamp 1
		.amdhsa_ieee_mode 1
		.amdhsa_fp16_overflow 0
		.amdhsa_exception_fp_ieee_invalid_op 0
		.amdhsa_exception_fp_denorm_src 0
		.amdhsa_exception_fp_ieee_div_zero 0
		.amdhsa_exception_fp_ieee_overflow 0
		.amdhsa_exception_fp_ieee_underflow 0
		.amdhsa_exception_fp_ieee_inexact 0
		.amdhsa_exception_int_div_zero 0
	.end_amdhsa_kernel
	.section	.text._Z15sort_key_kernelILj128ELj4EiN10test_utils4lessEEvPT1_T2_,"axG",@progbits,_Z15sort_key_kernelILj128ELj4EiN10test_utils4lessEEvPT1_T2_,comdat
.Lfunc_end3:
	.size	_Z15sort_key_kernelILj128ELj4EiN10test_utils4lessEEvPT1_T2_, .Lfunc_end3-_Z15sort_key_kernelILj128ELj4EiN10test_utils4lessEEvPT1_T2_
                                        ; -- End function
	.set _Z15sort_key_kernelILj128ELj4EiN10test_utils4lessEEvPT1_T2_.num_vgpr, 21
	.set _Z15sort_key_kernelILj128ELj4EiN10test_utils4lessEEvPT1_T2_.num_agpr, 0
	.set _Z15sort_key_kernelILj128ELj4EiN10test_utils4lessEEvPT1_T2_.numbered_sgpr, 8
	.set _Z15sort_key_kernelILj128ELj4EiN10test_utils4lessEEvPT1_T2_.num_named_barrier, 0
	.set _Z15sort_key_kernelILj128ELj4EiN10test_utils4lessEEvPT1_T2_.private_seg_size, 0
	.set _Z15sort_key_kernelILj128ELj4EiN10test_utils4lessEEvPT1_T2_.uses_vcc, 1
	.set _Z15sort_key_kernelILj128ELj4EiN10test_utils4lessEEvPT1_T2_.uses_flat_scratch, 0
	.set _Z15sort_key_kernelILj128ELj4EiN10test_utils4lessEEvPT1_T2_.has_dyn_sized_stack, 0
	.set _Z15sort_key_kernelILj128ELj4EiN10test_utils4lessEEvPT1_T2_.has_recursion, 0
	.set _Z15sort_key_kernelILj128ELj4EiN10test_utils4lessEEvPT1_T2_.has_indirect_call, 0
	.section	.AMDGPU.csdata,"",@progbits
; Kernel info:
; codeLenInByte = 4720
; TotalNumSgprs: 12
; NumVgprs: 21
; ScratchSize: 0
; MemoryBound: 0
; FloatMode: 240
; IeeeMode: 1
; LDSByteSize: 2052 bytes/workgroup (compile time only)
; SGPRBlocks: 8
; VGPRBlocks: 7
; NumSGPRsForWavesPerEU: 65
; NumVGPRsForWavesPerEU: 29
; Occupancy: 8
; WaveLimiterHint : 0
; COMPUTE_PGM_RSRC2:SCRATCH_EN: 0
; COMPUTE_PGM_RSRC2:USER_SGPR: 6
; COMPUTE_PGM_RSRC2:TRAP_HANDLER: 0
; COMPUTE_PGM_RSRC2:TGID_X_EN: 1
; COMPUTE_PGM_RSRC2:TGID_Y_EN: 0
; COMPUTE_PGM_RSRC2:TGID_Z_EN: 0
; COMPUTE_PGM_RSRC2:TIDIG_COMP_CNT: 0
	.section	.text._Z15sort_key_kernelILj64ELj2E12hip_bfloat16N10test_utils7greaterEEvPT1_T2_,"axG",@progbits,_Z15sort_key_kernelILj64ELj2E12hip_bfloat16N10test_utils7greaterEEvPT1_T2_,comdat
	.protected	_Z15sort_key_kernelILj64ELj2E12hip_bfloat16N10test_utils7greaterEEvPT1_T2_ ; -- Begin function _Z15sort_key_kernelILj64ELj2E12hip_bfloat16N10test_utils7greaterEEvPT1_T2_
	.globl	_Z15sort_key_kernelILj64ELj2E12hip_bfloat16N10test_utils7greaterEEvPT1_T2_
	.p2align	8
	.type	_Z15sort_key_kernelILj64ELj2E12hip_bfloat16N10test_utils7greaterEEvPT1_T2_,@function
_Z15sort_key_kernelILj64ELj2E12hip_bfloat16N10test_utils7greaterEEvPT1_T2_: ; @_Z15sort_key_kernelILj64ELj2E12hip_bfloat16N10test_utils7greaterEEvPT1_T2_
; %bb.0:
	s_load_dwordx2 s[0:1], s[4:5], 0x0
	s_lshl_b32 s2, s6, 7
	s_mov_b32 s3, 0
	s_lshl_b64 s[2:3], s[2:3], 1
	v_lshlrev_b32_e32 v2, 2, v0
	s_waitcnt lgkmcnt(0)
	s_add_u32 s0, s0, s2
	s_addc_u32 s1, s1, s3
	global_load_dword v11, v2, s[0:1]
	v_lshlrev_b32_e32 v3, 1, v0
	v_and_b32_e32 v6, 0x7c, v3
	v_or_b32_e32 v4, 2, v6
	v_add_u32_e32 v5, 4, v6
	v_and_b32_e32 v7, 2, v3
	v_sub_u32_e32 v1, v5, v4
	v_sub_u32_e32 v0, v4, v6
	;; [unrolled: 1-line block ×3, first 2 shown]
	v_cmp_ge_i32_e32 vcc, v7, v1
	v_min_i32_e32 v10, v7, v0
	v_cndmask_b32_e32 v9, 0, v9, vcc
	v_mov_b32_e32 v1, s1
	v_add_co_u32_e32 v0, vcc, s0, v2
	v_addc_co_u32_e32 v1, vcc, 0, v1, vcc
	v_lshlrev_b32_e32 v8, 1, v6
	s_waitcnt vmcnt(0)
	; wave barrier
	v_and_b32_e32 v12, 0xffff0000, v11
	v_lshlrev_b32_e32 v13, 16, v11
	v_lshrrev_b32_e32 v14, 16, v11
	v_cmp_lt_f32_e32 vcc, v13, v12
	v_cndmask_b32_e32 v12, v11, v14, vcc
	v_cndmask_b32_e32 v11, v14, v11, vcc
	v_cmp_lt_i32_e32 vcc, v9, v10
	ds_write_b16 v2, v12
	ds_write_b16 v2, v11 offset:2
	s_waitcnt lgkmcnt(0)
	; wave barrier
	s_and_saveexec_b64 s[0:1], vcc
	s_cbranch_execz .LBB4_4
; %bb.1:
	v_lshlrev_b32_e32 v11, 1, v7
	v_lshl_add_u32 v11, v4, 1, v11
	s_mov_b64 s[2:3], 0
.LBB4_2:                                ; =>This Inner Loop Header: Depth=1
	v_sub_u32_e32 v12, v10, v9
	v_lshrrev_b32_e32 v12, 1, v12
	v_add_u32_e32 v12, v12, v9
	v_not_b32_e32 v14, v12
	v_lshl_add_u32 v13, v12, 1, v8
	v_lshl_add_u32 v14, v14, 1, v11
	ds_read_u16 v13, v13
	ds_read_u16 v14, v14
	v_add_u32_e32 v15, 1, v12
	s_waitcnt lgkmcnt(1)
	v_lshlrev_b32_e32 v13, 16, v13
	s_waitcnt lgkmcnt(0)
	v_lshlrev_b32_e32 v14, 16, v14
	v_cmp_lt_f32_e32 vcc, v13, v14
	v_cndmask_b32_e32 v10, v10, v12, vcc
	v_cndmask_b32_e32 v9, v15, v9, vcc
	v_cmp_ge_i32_e32 vcc, v9, v10
	s_or_b64 s[2:3], vcc, s[2:3]
	s_andn2_b64 exec, exec, s[2:3]
	s_cbranch_execnz .LBB4_2
; %bb.3:
	s_or_b64 exec, exec, s[2:3]
.LBB4_4:
	s_or_b64 exec, exec, s[0:1]
	v_add_u32_e32 v7, v4, v7
	v_sub_u32_e32 v7, v7, v9
	v_lshl_add_u32 v14, v9, 1, v8
	v_lshlrev_b32_e32 v13, 1, v7
	ds_read_u16 v8, v14
	ds_read_u16 v10, v13
	v_add_u32_e32 v6, v9, v6
	v_cmp_le_i32_e64 s[0:1], v4, v6
	v_cmp_gt_i32_e32 vcc, v5, v7
	s_waitcnt lgkmcnt(1)
	v_lshlrev_b32_e32 v9, 16, v8
	s_waitcnt lgkmcnt(0)
	v_lshlrev_b32_e32 v11, 16, v10
	v_cmp_lt_f32_e64 s[2:3], v9, v11
	s_or_b64 s[0:1], s[0:1], s[2:3]
	s_and_b64 vcc, vcc, s[0:1]
	s_xor_b64 s[0:1], vcc, -1
                                        ; implicit-def: $vgpr12
	s_and_saveexec_b64 s[2:3], s[0:1]
	s_xor_b64 s[0:1], exec, s[2:3]
	s_cbranch_execz .LBB4_6
; %bb.5:
	ds_read_u16 v12, v14 offset:2
                                        ; implicit-def: $vgpr13
	s_waitcnt lgkmcnt(0)
	v_lshlrev_b32_e32 v9, 16, v12
.LBB4_6:
	s_or_saveexec_b64 s[0:1], s[0:1]
	v_mov_b32_e32 v14, v10
	s_xor_b64 exec, exec, s[0:1]
	s_cbranch_execz .LBB4_8
; %bb.7:
	ds_read_u16 v14, v13 offset:2
	v_mov_b32_e32 v12, v8
	s_waitcnt lgkmcnt(0)
	v_lshlrev_b32_e32 v11, 16, v14
.LBB4_8:
	s_or_b64 exec, exec, s[0:1]
	v_add_u32_e32 v13, 1, v6
	v_cndmask_b32_e32 v8, v8, v10, vcc
	v_add_u32_e32 v10, 1, v7
	v_cndmask_b32_e32 v6, v13, v6, vcc
	v_cndmask_b32_e32 v7, v7, v10, vcc
	v_cmp_ge_i32_e64 s[0:1], v6, v4
	v_cmp_lt_f32_e64 s[2:3], v9, v11
	v_cmp_lt_i32_e32 vcc, v7, v5
	s_or_b64 s[0:1], s[0:1], s[2:3]
	s_and_b64 vcc, vcc, s[0:1]
	v_cndmask_b32_e32 v4, v12, v14, vcc
	v_and_b32_e32 v6, 0x78, v3
	; wave barrier
	ds_write_b16 v2, v8
	ds_write_b16 v2, v4 offset:2
	v_or_b32_e32 v4, 4, v6
	v_add_u32_e32 v5, 8, v6
	v_and_b32_e32 v7, 6, v3
	v_sub_u32_e32 v8, v5, v4
	v_sub_u32_e32 v10, v4, v6
	;; [unrolled: 1-line block ×3, first 2 shown]
	v_cmp_ge_i32_e32 vcc, v7, v8
	v_cndmask_b32_e32 v8, 0, v11, vcc
	v_min_i32_e32 v10, v7, v10
	v_lshlrev_b32_e32 v9, 1, v6
	v_cmp_lt_i32_e32 vcc, v8, v10
	s_waitcnt lgkmcnt(0)
	; wave barrier
	s_and_saveexec_b64 s[0:1], vcc
	s_cbranch_execz .LBB4_12
; %bb.9:
	v_lshlrev_b32_e32 v11, 1, v7
	v_lshl_add_u32 v11, v4, 1, v11
	s_mov_b64 s[2:3], 0
.LBB4_10:                               ; =>This Inner Loop Header: Depth=1
	v_sub_u32_e32 v12, v10, v8
	v_lshrrev_b32_e32 v12, 1, v12
	v_add_u32_e32 v12, v12, v8
	v_not_b32_e32 v14, v12
	v_lshl_add_u32 v13, v12, 1, v9
	v_lshl_add_u32 v14, v14, 1, v11
	ds_read_u16 v13, v13
	ds_read_u16 v14, v14
	v_add_u32_e32 v15, 1, v12
	s_waitcnt lgkmcnt(1)
	v_lshlrev_b32_e32 v13, 16, v13
	s_waitcnt lgkmcnt(0)
	v_lshlrev_b32_e32 v14, 16, v14
	v_cmp_lt_f32_e32 vcc, v13, v14
	v_cndmask_b32_e32 v10, v10, v12, vcc
	v_cndmask_b32_e32 v8, v15, v8, vcc
	v_cmp_ge_i32_e32 vcc, v8, v10
	s_or_b64 s[2:3], vcc, s[2:3]
	s_andn2_b64 exec, exec, s[2:3]
	s_cbranch_execnz .LBB4_10
; %bb.11:
	s_or_b64 exec, exec, s[2:3]
.LBB4_12:
	s_or_b64 exec, exec, s[0:1]
	v_add_u32_e32 v7, v4, v7
	v_sub_u32_e32 v7, v7, v8
	v_lshl_add_u32 v14, v8, 1, v9
	v_lshlrev_b32_e32 v13, 1, v7
	ds_read_u16 v9, v14
	ds_read_u16 v10, v13
	v_add_u32_e32 v6, v8, v6
	v_cmp_le_i32_e64 s[0:1], v4, v6
	v_cmp_gt_i32_e32 vcc, v5, v7
	s_waitcnt lgkmcnt(1)
	v_lshlrev_b32_e32 v8, 16, v9
	s_waitcnt lgkmcnt(0)
	v_lshlrev_b32_e32 v11, 16, v10
	v_cmp_lt_f32_e64 s[2:3], v8, v11
	s_or_b64 s[0:1], s[0:1], s[2:3]
	s_and_b64 vcc, vcc, s[0:1]
	s_xor_b64 s[0:1], vcc, -1
                                        ; implicit-def: $vgpr12
	s_and_saveexec_b64 s[2:3], s[0:1]
	s_xor_b64 s[0:1], exec, s[2:3]
	s_cbranch_execz .LBB4_14
; %bb.13:
	ds_read_u16 v12, v14 offset:2
                                        ; implicit-def: $vgpr13
	s_waitcnt lgkmcnt(0)
	v_lshlrev_b32_e32 v8, 16, v12
.LBB4_14:
	s_or_saveexec_b64 s[0:1], s[0:1]
	v_mov_b32_e32 v14, v10
	s_xor_b64 exec, exec, s[0:1]
	s_cbranch_execz .LBB4_16
; %bb.15:
	ds_read_u16 v14, v13 offset:2
	v_mov_b32_e32 v12, v9
	s_waitcnt lgkmcnt(0)
	v_lshlrev_b32_e32 v11, 16, v14
.LBB4_16:
	s_or_b64 exec, exec, s[0:1]
	v_add_u32_e32 v13, 1, v6
	v_cndmask_b32_e32 v9, v9, v10, vcc
	v_add_u32_e32 v10, 1, v7
	v_cndmask_b32_e32 v6, v13, v6, vcc
	v_cndmask_b32_e32 v7, v7, v10, vcc
	v_cmp_ge_i32_e64 s[0:1], v6, v4
	v_cmp_lt_f32_e64 s[2:3], v8, v11
	v_cmp_lt_i32_e32 vcc, v7, v5
	s_or_b64 s[0:1], s[0:1], s[2:3]
	s_and_b64 vcc, vcc, s[0:1]
	v_cndmask_b32_e32 v4, v12, v14, vcc
	v_and_b32_e32 v6, 0x70, v3
	; wave barrier
	ds_write_b16 v2, v9
	ds_write_b16 v2, v4 offset:2
	v_or_b32_e32 v4, 8, v6
	v_add_u32_e32 v5, 16, v6
	v_and_b32_e32 v7, 14, v3
	v_sub_u32_e32 v8, v5, v4
	v_sub_u32_e32 v10, v4, v6
	;; [unrolled: 1-line block ×3, first 2 shown]
	v_cmp_ge_i32_e32 vcc, v7, v8
	v_cndmask_b32_e32 v8, 0, v11, vcc
	v_min_i32_e32 v10, v7, v10
	v_lshlrev_b32_e32 v9, 1, v6
	v_cmp_lt_i32_e32 vcc, v8, v10
	s_waitcnt lgkmcnt(0)
	; wave barrier
	s_and_saveexec_b64 s[0:1], vcc
	s_cbranch_execz .LBB4_20
; %bb.17:
	v_lshlrev_b32_e32 v11, 1, v7
	v_lshl_add_u32 v11, v4, 1, v11
	s_mov_b64 s[2:3], 0
.LBB4_18:                               ; =>This Inner Loop Header: Depth=1
	v_sub_u32_e32 v12, v10, v8
	v_lshrrev_b32_e32 v12, 1, v12
	v_add_u32_e32 v12, v12, v8
	v_not_b32_e32 v14, v12
	v_lshl_add_u32 v13, v12, 1, v9
	v_lshl_add_u32 v14, v14, 1, v11
	ds_read_u16 v13, v13
	ds_read_u16 v14, v14
	v_add_u32_e32 v15, 1, v12
	s_waitcnt lgkmcnt(1)
	v_lshlrev_b32_e32 v13, 16, v13
	s_waitcnt lgkmcnt(0)
	v_lshlrev_b32_e32 v14, 16, v14
	v_cmp_lt_f32_e32 vcc, v13, v14
	v_cndmask_b32_e32 v10, v10, v12, vcc
	v_cndmask_b32_e32 v8, v15, v8, vcc
	v_cmp_ge_i32_e32 vcc, v8, v10
	s_or_b64 s[2:3], vcc, s[2:3]
	s_andn2_b64 exec, exec, s[2:3]
	s_cbranch_execnz .LBB4_18
; %bb.19:
	s_or_b64 exec, exec, s[2:3]
.LBB4_20:
	s_or_b64 exec, exec, s[0:1]
	v_add_u32_e32 v7, v4, v7
	v_sub_u32_e32 v7, v7, v8
	v_lshl_add_u32 v14, v8, 1, v9
	v_lshlrev_b32_e32 v13, 1, v7
	ds_read_u16 v9, v14
	ds_read_u16 v10, v13
	v_add_u32_e32 v6, v8, v6
	v_cmp_le_i32_e64 s[0:1], v4, v6
	v_cmp_gt_i32_e32 vcc, v5, v7
	s_waitcnt lgkmcnt(1)
	v_lshlrev_b32_e32 v8, 16, v9
	s_waitcnt lgkmcnt(0)
	v_lshlrev_b32_e32 v11, 16, v10
	v_cmp_lt_f32_e64 s[2:3], v8, v11
	s_or_b64 s[0:1], s[0:1], s[2:3]
	s_and_b64 vcc, vcc, s[0:1]
	s_xor_b64 s[0:1], vcc, -1
                                        ; implicit-def: $vgpr12
	s_and_saveexec_b64 s[2:3], s[0:1]
	s_xor_b64 s[0:1], exec, s[2:3]
	s_cbranch_execz .LBB4_22
; %bb.21:
	ds_read_u16 v12, v14 offset:2
                                        ; implicit-def: $vgpr13
	s_waitcnt lgkmcnt(0)
	v_lshlrev_b32_e32 v8, 16, v12
.LBB4_22:
	s_or_saveexec_b64 s[0:1], s[0:1]
	v_mov_b32_e32 v14, v10
	s_xor_b64 exec, exec, s[0:1]
	s_cbranch_execz .LBB4_24
; %bb.23:
	ds_read_u16 v14, v13 offset:2
	v_mov_b32_e32 v12, v9
	s_waitcnt lgkmcnt(0)
	v_lshlrev_b32_e32 v11, 16, v14
.LBB4_24:
	s_or_b64 exec, exec, s[0:1]
	v_add_u32_e32 v13, 1, v6
	v_cndmask_b32_e32 v9, v9, v10, vcc
	v_add_u32_e32 v10, 1, v7
	v_cndmask_b32_e32 v6, v13, v6, vcc
	v_cndmask_b32_e32 v7, v7, v10, vcc
	v_cmp_ge_i32_e64 s[0:1], v6, v4
	v_cmp_lt_f32_e64 s[2:3], v8, v11
	v_cmp_lt_i32_e32 vcc, v7, v5
	s_or_b64 s[0:1], s[0:1], s[2:3]
	s_and_b64 vcc, vcc, s[0:1]
	v_cndmask_b32_e32 v4, v12, v14, vcc
	v_and_b32_e32 v6, 0x60, v3
	; wave barrier
	ds_write_b16 v2, v9
	ds_write_b16 v2, v4 offset:2
	v_or_b32_e32 v4, 16, v6
	v_add_u32_e32 v5, 32, v6
	v_and_b32_e32 v7, 30, v3
	v_sub_u32_e32 v8, v5, v4
	v_sub_u32_e32 v10, v4, v6
	;; [unrolled: 1-line block ×3, first 2 shown]
	v_cmp_ge_i32_e32 vcc, v7, v8
	v_cndmask_b32_e32 v8, 0, v11, vcc
	v_min_i32_e32 v10, v7, v10
	v_lshlrev_b32_e32 v9, 1, v6
	v_cmp_lt_i32_e32 vcc, v8, v10
	s_waitcnt lgkmcnt(0)
	; wave barrier
	s_and_saveexec_b64 s[0:1], vcc
	s_cbranch_execz .LBB4_28
; %bb.25:
	v_lshlrev_b32_e32 v11, 1, v7
	v_lshl_add_u32 v11, v4, 1, v11
	s_mov_b64 s[2:3], 0
.LBB4_26:                               ; =>This Inner Loop Header: Depth=1
	v_sub_u32_e32 v12, v10, v8
	v_lshrrev_b32_e32 v12, 1, v12
	v_add_u32_e32 v12, v12, v8
	v_not_b32_e32 v14, v12
	v_lshl_add_u32 v13, v12, 1, v9
	v_lshl_add_u32 v14, v14, 1, v11
	ds_read_u16 v13, v13
	ds_read_u16 v14, v14
	v_add_u32_e32 v15, 1, v12
	s_waitcnt lgkmcnt(1)
	v_lshlrev_b32_e32 v13, 16, v13
	s_waitcnt lgkmcnt(0)
	v_lshlrev_b32_e32 v14, 16, v14
	v_cmp_lt_f32_e32 vcc, v13, v14
	v_cndmask_b32_e32 v10, v10, v12, vcc
	v_cndmask_b32_e32 v8, v15, v8, vcc
	v_cmp_ge_i32_e32 vcc, v8, v10
	s_or_b64 s[2:3], vcc, s[2:3]
	s_andn2_b64 exec, exec, s[2:3]
	s_cbranch_execnz .LBB4_26
; %bb.27:
	s_or_b64 exec, exec, s[2:3]
.LBB4_28:
	s_or_b64 exec, exec, s[0:1]
	v_add_u32_e32 v7, v4, v7
	v_sub_u32_e32 v7, v7, v8
	v_lshl_add_u32 v14, v8, 1, v9
	v_lshlrev_b32_e32 v13, 1, v7
	ds_read_u16 v9, v14
	ds_read_u16 v10, v13
	v_add_u32_e32 v6, v8, v6
	v_cmp_le_i32_e64 s[0:1], v4, v6
	v_cmp_gt_i32_e32 vcc, v5, v7
	s_waitcnt lgkmcnt(1)
	v_lshlrev_b32_e32 v8, 16, v9
	s_waitcnt lgkmcnt(0)
	v_lshlrev_b32_e32 v11, 16, v10
	v_cmp_lt_f32_e64 s[2:3], v8, v11
	s_or_b64 s[0:1], s[0:1], s[2:3]
	s_and_b64 vcc, vcc, s[0:1]
	s_xor_b64 s[0:1], vcc, -1
                                        ; implicit-def: $vgpr12
	s_and_saveexec_b64 s[2:3], s[0:1]
	s_xor_b64 s[0:1], exec, s[2:3]
	s_cbranch_execz .LBB4_30
; %bb.29:
	ds_read_u16 v12, v14 offset:2
                                        ; implicit-def: $vgpr13
	s_waitcnt lgkmcnt(0)
	v_lshlrev_b32_e32 v8, 16, v12
.LBB4_30:
	s_or_saveexec_b64 s[0:1], s[0:1]
	v_mov_b32_e32 v14, v10
	s_xor_b64 exec, exec, s[0:1]
	s_cbranch_execz .LBB4_32
; %bb.31:
	ds_read_u16 v14, v13 offset:2
	v_mov_b32_e32 v12, v9
	s_waitcnt lgkmcnt(0)
	v_lshlrev_b32_e32 v11, 16, v14
.LBB4_32:
	s_or_b64 exec, exec, s[0:1]
	v_add_u32_e32 v13, 1, v6
	v_cndmask_b32_e32 v9, v9, v10, vcc
	v_add_u32_e32 v10, 1, v7
	v_cndmask_b32_e32 v6, v13, v6, vcc
	v_cndmask_b32_e32 v7, v7, v10, vcc
	v_cmp_ge_i32_e64 s[0:1], v6, v4
	v_cmp_lt_f32_e64 s[2:3], v8, v11
	v_cmp_lt_i32_e32 vcc, v7, v5
	s_or_b64 s[0:1], s[0:1], s[2:3]
	s_and_b64 vcc, vcc, s[0:1]
	v_cndmask_b32_e32 v4, v12, v14, vcc
	v_and_b32_e32 v6, 64, v3
	; wave barrier
	ds_write_b16 v2, v9
	ds_write_b16 v2, v4 offset:2
	v_or_b32_e32 v4, 32, v6
	v_add_u32_e32 v5, 64, v6
	v_and_b32_e32 v7, 62, v3
	v_sub_u32_e32 v8, v5, v4
	v_sub_u32_e32 v10, v4, v6
	;; [unrolled: 1-line block ×3, first 2 shown]
	v_cmp_ge_i32_e32 vcc, v7, v8
	v_cndmask_b32_e32 v8, 0, v11, vcc
	v_min_i32_e32 v10, v7, v10
	v_lshlrev_b32_e32 v9, 1, v6
	v_cmp_lt_i32_e32 vcc, v8, v10
	s_waitcnt lgkmcnt(0)
	; wave barrier
	s_and_saveexec_b64 s[0:1], vcc
	s_cbranch_execz .LBB4_36
; %bb.33:
	v_lshlrev_b32_e32 v11, 1, v7
	v_lshl_add_u32 v11, v4, 1, v11
	s_mov_b64 s[2:3], 0
.LBB4_34:                               ; =>This Inner Loop Header: Depth=1
	v_sub_u32_e32 v12, v10, v8
	v_lshrrev_b32_e32 v12, 1, v12
	v_add_u32_e32 v12, v12, v8
	v_not_b32_e32 v14, v12
	v_lshl_add_u32 v13, v12, 1, v9
	v_lshl_add_u32 v14, v14, 1, v11
	ds_read_u16 v13, v13
	ds_read_u16 v14, v14
	v_add_u32_e32 v15, 1, v12
	s_waitcnt lgkmcnt(1)
	v_lshlrev_b32_e32 v13, 16, v13
	s_waitcnt lgkmcnt(0)
	v_lshlrev_b32_e32 v14, 16, v14
	v_cmp_lt_f32_e32 vcc, v13, v14
	v_cndmask_b32_e32 v10, v10, v12, vcc
	v_cndmask_b32_e32 v8, v15, v8, vcc
	v_cmp_ge_i32_e32 vcc, v8, v10
	s_or_b64 s[2:3], vcc, s[2:3]
	s_andn2_b64 exec, exec, s[2:3]
	s_cbranch_execnz .LBB4_34
; %bb.35:
	s_or_b64 exec, exec, s[2:3]
.LBB4_36:
	s_or_b64 exec, exec, s[0:1]
	v_add_u32_e32 v7, v4, v7
	v_sub_u32_e32 v7, v7, v8
	v_lshl_add_u32 v14, v8, 1, v9
	v_lshlrev_b32_e32 v13, 1, v7
	ds_read_u16 v9, v14
	ds_read_u16 v10, v13
	v_add_u32_e32 v6, v8, v6
	v_cmp_le_i32_e64 s[0:1], v4, v6
	v_cmp_gt_i32_e32 vcc, v5, v7
	s_waitcnt lgkmcnt(1)
	v_lshlrev_b32_e32 v8, 16, v9
	s_waitcnt lgkmcnt(0)
	v_lshlrev_b32_e32 v11, 16, v10
	v_cmp_lt_f32_e64 s[2:3], v8, v11
	s_or_b64 s[0:1], s[0:1], s[2:3]
	s_and_b64 vcc, vcc, s[0:1]
	s_xor_b64 s[0:1], vcc, -1
                                        ; implicit-def: $vgpr12
	s_and_saveexec_b64 s[2:3], s[0:1]
	s_xor_b64 s[0:1], exec, s[2:3]
	s_cbranch_execz .LBB4_38
; %bb.37:
	ds_read_u16 v12, v14 offset:2
                                        ; implicit-def: $vgpr13
	s_waitcnt lgkmcnt(0)
	v_lshlrev_b32_e32 v8, 16, v12
.LBB4_38:
	s_or_saveexec_b64 s[0:1], s[0:1]
	v_mov_b32_e32 v14, v10
	s_xor_b64 exec, exec, s[0:1]
	s_cbranch_execz .LBB4_40
; %bb.39:
	ds_read_u16 v14, v13 offset:2
	v_mov_b32_e32 v12, v9
	s_waitcnt lgkmcnt(0)
	v_lshlrev_b32_e32 v11, 16, v14
.LBB4_40:
	s_or_b64 exec, exec, s[0:1]
	v_add_u32_e32 v13, 1, v6
	v_cndmask_b32_e32 v9, v9, v10, vcc
	v_add_u32_e32 v10, 1, v7
	v_cndmask_b32_e32 v6, v13, v6, vcc
	v_cndmask_b32_e32 v7, v7, v10, vcc
	v_cmp_ge_i32_e64 s[0:1], v6, v4
	v_cmp_lt_f32_e64 s[2:3], v8, v11
	v_cmp_lt_i32_e32 vcc, v7, v5
	s_or_b64 s[0:1], s[0:1], s[2:3]
	s_and_b64 vcc, vcc, s[0:1]
	v_cndmask_b32_e32 v4, v12, v14, vcc
	v_and_b32_e32 v3, 0x7e, v3
	; wave barrier
	ds_write_b16 v2, v9
	ds_write_b16 v2, v4 offset:2
	v_sub_u32_e64 v2, v3, 64 clamp
	v_min_i32_e32 v4, 64, v3
	v_cmp_lt_i32_e32 vcc, v2, v4
	s_waitcnt lgkmcnt(0)
	; wave barrier
	s_and_saveexec_b64 s[0:1], vcc
	s_cbranch_execz .LBB4_44
; %bb.41:
	v_lshlrev_b32_e32 v5, 1, v3
	v_lshl_add_u32 v5, 64, 1, v5
	s_mov_b64 s[2:3], 0
.LBB4_42:                               ; =>This Inner Loop Header: Depth=1
	v_sub_u32_e32 v6, v4, v2
	v_lshrrev_b32_e32 v6, 1, v6
	v_add_u32_e32 v6, v6, v2
	v_not_b32_e32 v8, v6
	v_lshlrev_b32_e32 v7, 1, v6
	v_lshl_add_u32 v8, v8, 1, v5
	ds_read_u16 v7, v7
	ds_read_u16 v8, v8
	v_add_u32_e32 v9, 1, v6
	s_waitcnt lgkmcnt(1)
	v_lshlrev_b32_e32 v7, 16, v7
	s_waitcnt lgkmcnt(0)
	v_lshlrev_b32_e32 v8, 16, v8
	v_cmp_lt_f32_e32 vcc, v7, v8
	v_cndmask_b32_e32 v4, v4, v6, vcc
	v_cndmask_b32_e32 v2, v9, v2, vcc
	v_cmp_ge_i32_e32 vcc, v2, v4
	s_or_b64 s[2:3], vcc, s[2:3]
	s_andn2_b64 exec, exec, s[2:3]
	s_cbranch_execnz .LBB4_42
; %bb.43:
	s_or_b64 exec, exec, s[2:3]
.LBB4_44:
	s_or_b64 exec, exec, s[0:1]
	v_add_u32_e32 v3, 64, v3
	v_sub_u32_e32 v3, v3, v2
	v_lshlrev_b32_e32 v10, 1, v2
	v_lshlrev_b32_e32 v9, 1, v3
	ds_read_u16 v6, v10
	ds_read_u16 v4, v9
	s_movk_i32 s0, 0x7f
	v_cmp_lt_i32_e32 vcc, s0, v3
	v_cmp_gt_i32_e64 s[0:1], 64, v2
	s_waitcnt lgkmcnt(1)
	v_lshlrev_b32_e32 v5, 16, v6
	s_waitcnt lgkmcnt(0)
	v_lshlrev_b32_e32 v7, 16, v4
	v_cmp_nlt_f32_e64 s[2:3], v5, v7
	s_and_b64 s[0:1], s[0:1], s[2:3]
	s_or_b64 s[0:1], vcc, s[0:1]
                                        ; implicit-def: $vgpr8
	s_and_saveexec_b64 s[2:3], s[0:1]
	s_xor_b64 s[0:1], exec, s[2:3]
	s_cbranch_execz .LBB4_46
; %bb.45:
	ds_read_u16 v8, v10 offset:2
	v_add_u32_e32 v2, 1, v2
                                        ; implicit-def: $vgpr9
	s_waitcnt lgkmcnt(0)
	v_lshlrev_b32_e32 v5, 16, v8
.LBB4_46:
	s_or_saveexec_b64 s[0:1], s[0:1]
	v_mov_b32_e32 v10, v6
	s_xor_b64 exec, exec, s[0:1]
	s_cbranch_execz .LBB4_48
; %bb.47:
	ds_read_u16 v9, v9 offset:2
	v_add_u32_e32 v3, 1, v3
	v_mov_b32_e32 v10, v4
	v_mov_b32_e32 v8, v6
	s_waitcnt lgkmcnt(0)
	v_lshlrev_b32_e32 v7, 16, v9
	v_mov_b32_e32 v4, v9
.LBB4_48:
	s_or_b64 exec, exec, s[0:1]
	s_movk_i32 s0, 0x80
	v_cmp_gt_i32_e32 vcc, s0, v3
	v_cmp_le_i32_e64 s[0:1], 64, v2
	v_cmp_lt_f32_e64 s[2:3], v5, v7
	s_or_b64 s[0:1], s[0:1], s[2:3]
	s_and_b64 vcc, vcc, s[0:1]
	v_cndmask_b32_e32 v2, v8, v4, vcc
	s_mov_b32 s0, 0x5040100
	v_perm_b32 v2, v2, v10, s0
	global_store_dword v[0:1], v2, off
	s_endpgm
	.section	.rodata,"a",@progbits
	.p2align	6, 0x0
	.amdhsa_kernel _Z15sort_key_kernelILj64ELj2E12hip_bfloat16N10test_utils7greaterEEvPT1_T2_
		.amdhsa_group_segment_fixed_size 258
		.amdhsa_private_segment_fixed_size 0
		.amdhsa_kernarg_size 12
		.amdhsa_user_sgpr_count 6
		.amdhsa_user_sgpr_private_segment_buffer 1
		.amdhsa_user_sgpr_dispatch_ptr 0
		.amdhsa_user_sgpr_queue_ptr 0
		.amdhsa_user_sgpr_kernarg_segment_ptr 1
		.amdhsa_user_sgpr_dispatch_id 0
		.amdhsa_user_sgpr_flat_scratch_init 0
		.amdhsa_user_sgpr_private_segment_size 0
		.amdhsa_uses_dynamic_stack 0
		.amdhsa_system_sgpr_private_segment_wavefront_offset 0
		.amdhsa_system_sgpr_workgroup_id_x 1
		.amdhsa_system_sgpr_workgroup_id_y 0
		.amdhsa_system_sgpr_workgroup_id_z 0
		.amdhsa_system_sgpr_workgroup_info 0
		.amdhsa_system_vgpr_workitem_id 0
		.amdhsa_next_free_vgpr 16
		.amdhsa_next_free_sgpr 7
		.amdhsa_reserve_vcc 1
		.amdhsa_reserve_flat_scratch 0
		.amdhsa_float_round_mode_32 0
		.amdhsa_float_round_mode_16_64 0
		.amdhsa_float_denorm_mode_32 3
		.amdhsa_float_denorm_mode_16_64 3
		.amdhsa_dx10_clamp 1
		.amdhsa_ieee_mode 1
		.amdhsa_fp16_overflow 0
		.amdhsa_exception_fp_ieee_invalid_op 0
		.amdhsa_exception_fp_denorm_src 0
		.amdhsa_exception_fp_ieee_div_zero 0
		.amdhsa_exception_fp_ieee_overflow 0
		.amdhsa_exception_fp_ieee_underflow 0
		.amdhsa_exception_fp_ieee_inexact 0
		.amdhsa_exception_int_div_zero 0
	.end_amdhsa_kernel
	.section	.text._Z15sort_key_kernelILj64ELj2E12hip_bfloat16N10test_utils7greaterEEvPT1_T2_,"axG",@progbits,_Z15sort_key_kernelILj64ELj2E12hip_bfloat16N10test_utils7greaterEEvPT1_T2_,comdat
.Lfunc_end4:
	.size	_Z15sort_key_kernelILj64ELj2E12hip_bfloat16N10test_utils7greaterEEvPT1_T2_, .Lfunc_end4-_Z15sort_key_kernelILj64ELj2E12hip_bfloat16N10test_utils7greaterEEvPT1_T2_
                                        ; -- End function
	.set _Z15sort_key_kernelILj64ELj2E12hip_bfloat16N10test_utils7greaterEEvPT1_T2_.num_vgpr, 16
	.set _Z15sort_key_kernelILj64ELj2E12hip_bfloat16N10test_utils7greaterEEvPT1_T2_.num_agpr, 0
	.set _Z15sort_key_kernelILj64ELj2E12hip_bfloat16N10test_utils7greaterEEvPT1_T2_.numbered_sgpr, 7
	.set _Z15sort_key_kernelILj64ELj2E12hip_bfloat16N10test_utils7greaterEEvPT1_T2_.num_named_barrier, 0
	.set _Z15sort_key_kernelILj64ELj2E12hip_bfloat16N10test_utils7greaterEEvPT1_T2_.private_seg_size, 0
	.set _Z15sort_key_kernelILj64ELj2E12hip_bfloat16N10test_utils7greaterEEvPT1_T2_.uses_vcc, 1
	.set _Z15sort_key_kernelILj64ELj2E12hip_bfloat16N10test_utils7greaterEEvPT1_T2_.uses_flat_scratch, 0
	.set _Z15sort_key_kernelILj64ELj2E12hip_bfloat16N10test_utils7greaterEEvPT1_T2_.has_dyn_sized_stack, 0
	.set _Z15sort_key_kernelILj64ELj2E12hip_bfloat16N10test_utils7greaterEEvPT1_T2_.has_recursion, 0
	.set _Z15sort_key_kernelILj64ELj2E12hip_bfloat16N10test_utils7greaterEEvPT1_T2_.has_indirect_call, 0
	.section	.AMDGPU.csdata,"",@progbits
; Kernel info:
; codeLenInByte = 2524
; TotalNumSgprs: 11
; NumVgprs: 16
; ScratchSize: 0
; MemoryBound: 0
; FloatMode: 240
; IeeeMode: 1
; LDSByteSize: 258 bytes/workgroup (compile time only)
; SGPRBlocks: 1
; VGPRBlocks: 3
; NumSGPRsForWavesPerEU: 11
; NumVGPRsForWavesPerEU: 16
; Occupancy: 10
; WaveLimiterHint : 0
; COMPUTE_PGM_RSRC2:SCRATCH_EN: 0
; COMPUTE_PGM_RSRC2:USER_SGPR: 6
; COMPUTE_PGM_RSRC2:TRAP_HANDLER: 0
; COMPUTE_PGM_RSRC2:TGID_X_EN: 1
; COMPUTE_PGM_RSRC2:TGID_Y_EN: 0
; COMPUTE_PGM_RSRC2:TGID_Z_EN: 0
; COMPUTE_PGM_RSRC2:TIDIG_COMP_CNT: 0
	.section	.text._Z15sort_key_kernelILj64ELj2E6__halfN10test_utils7greaterEEvPT1_T2_,"axG",@progbits,_Z15sort_key_kernelILj64ELj2E6__halfN10test_utils7greaterEEvPT1_T2_,comdat
	.protected	_Z15sort_key_kernelILj64ELj2E6__halfN10test_utils7greaterEEvPT1_T2_ ; -- Begin function _Z15sort_key_kernelILj64ELj2E6__halfN10test_utils7greaterEEvPT1_T2_
	.globl	_Z15sort_key_kernelILj64ELj2E6__halfN10test_utils7greaterEEvPT1_T2_
	.p2align	8
	.type	_Z15sort_key_kernelILj64ELj2E6__halfN10test_utils7greaterEEvPT1_T2_,@function
_Z15sort_key_kernelILj64ELj2E6__halfN10test_utils7greaterEEvPT1_T2_: ; @_Z15sort_key_kernelILj64ELj2E6__halfN10test_utils7greaterEEvPT1_T2_
; %bb.0:
	s_load_dwordx2 s[0:1], s[4:5], 0x0
	s_lshl_b32 s2, s6, 7
	s_mov_b32 s3, 0
	s_lshl_b64 s[2:3], s[2:3], 1
	v_lshlrev_b32_e32 v2, 2, v0
	s_waitcnt lgkmcnt(0)
	s_add_u32 s0, s0, s2
	s_addc_u32 s1, s1, s3
	global_load_dword v11, v2, s[0:1]
	v_lshlrev_b32_e32 v3, 1, v0
	v_and_b32_e32 v6, 0x7c, v3
	v_or_b32_e32 v4, 2, v6
	v_add_u32_e32 v5, 4, v6
	v_and_b32_e32 v8, 2, v3
	v_sub_u32_e32 v1, v5, v4
	v_sub_u32_e32 v0, v4, v6
	;; [unrolled: 1-line block ×3, first 2 shown]
	v_cmp_ge_i32_e32 vcc, v8, v1
	v_min_i32_e32 v10, v8, v0
	v_cndmask_b32_e32 v9, 0, v9, vcc
	v_mov_b32_e32 v1, s1
	v_add_co_u32_e32 v0, vcc, s0, v2
	v_addc_co_u32_e32 v1, vcc, 0, v1, vcc
	v_lshlrev_b32_e32 v7, 1, v6
	s_waitcnt vmcnt(0)
	; wave barrier
	v_lshrrev_b32_e32 v12, 16, v11
	v_cmp_lt_f16_e32 vcc, v11, v12
	v_cndmask_b32_e32 v13, v11, v12, vcc
	v_cndmask_b32_e32 v11, v12, v11, vcc
	v_cmp_lt_i32_e32 vcc, v9, v10
	ds_write_b16 v2, v13
	ds_write_b16 v2, v11 offset:2
	s_waitcnt lgkmcnt(0)
	; wave barrier
	s_and_saveexec_b64 s[0:1], vcc
	s_cbranch_execz .LBB5_4
; %bb.1:
	v_lshlrev_b32_e32 v11, 1, v8
	v_lshl_add_u32 v11, v4, 1, v11
	s_mov_b64 s[2:3], 0
.LBB5_2:                                ; =>This Inner Loop Header: Depth=1
	v_sub_u32_e32 v12, v10, v9
	v_lshrrev_b32_e32 v12, 1, v12
	v_add_u32_e32 v12, v12, v9
	v_not_b32_e32 v14, v12
	v_lshl_add_u32 v13, v12, 1, v7
	v_lshl_add_u32 v14, v14, 1, v11
	ds_read_u16 v13, v13
	ds_read_u16 v14, v14
	v_add_u32_e32 v15, 1, v12
	s_waitcnt lgkmcnt(0)
	v_cmp_gt_f16_e32 vcc, v14, v13
	v_cndmask_b32_e32 v10, v10, v12, vcc
	v_cndmask_b32_e32 v9, v15, v9, vcc
	v_cmp_ge_i32_e32 vcc, v9, v10
	s_or_b64 s[2:3], vcc, s[2:3]
	s_andn2_b64 exec, exec, s[2:3]
	s_cbranch_execnz .LBB5_2
; %bb.3:
	s_or_b64 exec, exec, s[2:3]
.LBB5_4:
	s_or_b64 exec, exec, s[0:1]
	v_add_u32_e32 v8, v4, v8
	v_sub_u32_e32 v8, v8, v9
	v_lshlrev_b32_e32 v12, 1, v8
	v_lshl_add_u32 v13, v9, 1, v7
	ds_read_u16 v10, v12
	ds_read_u16 v11, v13
	v_add_u32_e32 v7, v9, v6
	v_cmp_le_i32_e64 s[0:1], v4, v7
	v_cmp_gt_i32_e32 vcc, v5, v8
	s_waitcnt lgkmcnt(1)
	v_mov_b32_e32 v6, v10
	s_waitcnt lgkmcnt(0)
	v_cmp_gt_f16_e64 s[2:3], v10, v11
	s_or_b64 s[0:1], s[0:1], s[2:3]
	s_and_b64 vcc, vcc, s[0:1]
	s_xor_b64 s[0:1], vcc, -1
                                        ; implicit-def: $vgpr9
	s_and_saveexec_b64 s[2:3], s[0:1]
	s_xor_b64 s[0:1], exec, s[2:3]
; %bb.5:
	ds_read_u16 v9, v13 offset:2
                                        ; implicit-def: $vgpr12
; %bb.6:
	s_andn2_saveexec_b64 s[0:1], s[0:1]
	s_cbranch_execz .LBB5_8
; %bb.7:
	ds_read_u16 v6, v12 offset:2
	s_waitcnt lgkmcnt(1)
	v_mov_b32_e32 v9, v11
.LBB5_8:
	s_or_b64 exec, exec, s[0:1]
	v_add_u32_e32 v12, 1, v7
	v_cndmask_b32_e32 v10, v11, v10, vcc
	v_add_u32_e32 v11, 1, v8
	v_cndmask_b32_e32 v7, v12, v7, vcc
	v_cndmask_b32_e32 v8, v8, v11, vcc
	v_cmp_ge_i32_e64 s[0:1], v7, v4
	s_waitcnt lgkmcnt(0)
	v_cmp_gt_f16_e64 s[2:3], v6, v9
	v_cmp_lt_i32_e32 vcc, v8, v5
	s_or_b64 s[0:1], s[0:1], s[2:3]
	s_and_b64 vcc, vcc, s[0:1]
	v_cndmask_b32_e32 v4, v9, v6, vcc
	v_and_b32_e32 v6, 0x78, v3
	; wave barrier
	ds_write_b16 v2, v10
	ds_write_b16 v2, v4 offset:2
	v_or_b32_e32 v4, 4, v6
	v_add_u32_e32 v5, 8, v6
	v_and_b32_e32 v7, 6, v3
	v_sub_u32_e32 v9, v5, v4
	v_sub_u32_e32 v10, v4, v6
	v_sub_u32_e32 v11, v7, v9
	v_cmp_ge_i32_e32 vcc, v7, v9
	v_cndmask_b32_e32 v9, 0, v11, vcc
	v_min_i32_e32 v10, v7, v10
	v_lshlrev_b32_e32 v8, 1, v6
	v_cmp_lt_i32_e32 vcc, v9, v10
	s_waitcnt lgkmcnt(0)
	; wave barrier
	s_and_saveexec_b64 s[0:1], vcc
	s_cbranch_execz .LBB5_12
; %bb.9:
	v_lshlrev_b32_e32 v11, 1, v7
	v_lshl_add_u32 v11, v4, 1, v11
	s_mov_b64 s[2:3], 0
.LBB5_10:                               ; =>This Inner Loop Header: Depth=1
	v_sub_u32_e32 v12, v10, v9
	v_lshrrev_b32_e32 v12, 1, v12
	v_add_u32_e32 v12, v12, v9
	v_not_b32_e32 v14, v12
	v_lshl_add_u32 v13, v12, 1, v8
	v_lshl_add_u32 v14, v14, 1, v11
	ds_read_u16 v13, v13
	ds_read_u16 v14, v14
	v_add_u32_e32 v15, 1, v12
	s_waitcnt lgkmcnt(0)
	v_cmp_gt_f16_e32 vcc, v14, v13
	v_cndmask_b32_e32 v10, v10, v12, vcc
	v_cndmask_b32_e32 v9, v15, v9, vcc
	v_cmp_ge_i32_e32 vcc, v9, v10
	s_or_b64 s[2:3], vcc, s[2:3]
	s_andn2_b64 exec, exec, s[2:3]
	s_cbranch_execnz .LBB5_10
; %bb.11:
	s_or_b64 exec, exec, s[2:3]
.LBB5_12:
	s_or_b64 exec, exec, s[0:1]
	v_add_u32_e32 v7, v4, v7
	v_sub_u32_e32 v7, v7, v9
	v_lshlrev_b32_e32 v12, 1, v7
	v_lshl_add_u32 v13, v9, 1, v8
	ds_read_u16 v10, v12
	ds_read_u16 v11, v13
	v_add_u32_e32 v8, v9, v6
	v_cmp_le_i32_e64 s[0:1], v4, v8
	v_cmp_gt_i32_e32 vcc, v5, v7
	s_waitcnt lgkmcnt(1)
	v_mov_b32_e32 v6, v10
	s_waitcnt lgkmcnt(0)
	v_cmp_gt_f16_e64 s[2:3], v10, v11
	s_or_b64 s[0:1], s[0:1], s[2:3]
	s_and_b64 vcc, vcc, s[0:1]
	s_xor_b64 s[0:1], vcc, -1
                                        ; implicit-def: $vgpr9
	s_and_saveexec_b64 s[2:3], s[0:1]
	s_xor_b64 s[0:1], exec, s[2:3]
; %bb.13:
	ds_read_u16 v9, v13 offset:2
                                        ; implicit-def: $vgpr12
; %bb.14:
	s_andn2_saveexec_b64 s[0:1], s[0:1]
	s_cbranch_execz .LBB5_16
; %bb.15:
	ds_read_u16 v6, v12 offset:2
	s_waitcnt lgkmcnt(1)
	v_mov_b32_e32 v9, v11
.LBB5_16:
	s_or_b64 exec, exec, s[0:1]
	v_add_u32_e32 v12, 1, v8
	v_cndmask_b32_e32 v10, v11, v10, vcc
	v_add_u32_e32 v11, 1, v7
	v_cndmask_b32_e32 v8, v12, v8, vcc
	v_cndmask_b32_e32 v7, v7, v11, vcc
	v_cmp_ge_i32_e64 s[0:1], v8, v4
	s_waitcnt lgkmcnt(0)
	v_cmp_gt_f16_e64 s[2:3], v6, v9
	v_cmp_lt_i32_e32 vcc, v7, v5
	s_or_b64 s[0:1], s[0:1], s[2:3]
	s_and_b64 vcc, vcc, s[0:1]
	v_cndmask_b32_e32 v4, v9, v6, vcc
	v_and_b32_e32 v6, 0x70, v3
	; wave barrier
	ds_write_b16 v2, v10
	ds_write_b16 v2, v4 offset:2
	v_or_b32_e32 v4, 8, v6
	v_add_u32_e32 v5, 16, v6
	v_and_b32_e32 v7, 14, v3
	v_sub_u32_e32 v9, v5, v4
	v_sub_u32_e32 v10, v4, v6
	;; [unrolled: 1-line block ×3, first 2 shown]
	v_cmp_ge_i32_e32 vcc, v7, v9
	v_cndmask_b32_e32 v9, 0, v11, vcc
	v_min_i32_e32 v10, v7, v10
	v_lshlrev_b32_e32 v8, 1, v6
	v_cmp_lt_i32_e32 vcc, v9, v10
	s_waitcnt lgkmcnt(0)
	; wave barrier
	s_and_saveexec_b64 s[0:1], vcc
	s_cbranch_execz .LBB5_20
; %bb.17:
	v_lshlrev_b32_e32 v11, 1, v7
	v_lshl_add_u32 v11, v4, 1, v11
	s_mov_b64 s[2:3], 0
.LBB5_18:                               ; =>This Inner Loop Header: Depth=1
	v_sub_u32_e32 v12, v10, v9
	v_lshrrev_b32_e32 v12, 1, v12
	v_add_u32_e32 v12, v12, v9
	v_not_b32_e32 v14, v12
	v_lshl_add_u32 v13, v12, 1, v8
	v_lshl_add_u32 v14, v14, 1, v11
	ds_read_u16 v13, v13
	ds_read_u16 v14, v14
	v_add_u32_e32 v15, 1, v12
	s_waitcnt lgkmcnt(0)
	v_cmp_gt_f16_e32 vcc, v14, v13
	v_cndmask_b32_e32 v10, v10, v12, vcc
	v_cndmask_b32_e32 v9, v15, v9, vcc
	v_cmp_ge_i32_e32 vcc, v9, v10
	s_or_b64 s[2:3], vcc, s[2:3]
	s_andn2_b64 exec, exec, s[2:3]
	s_cbranch_execnz .LBB5_18
; %bb.19:
	s_or_b64 exec, exec, s[2:3]
.LBB5_20:
	s_or_b64 exec, exec, s[0:1]
	v_add_u32_e32 v7, v4, v7
	v_sub_u32_e32 v7, v7, v9
	v_lshlrev_b32_e32 v12, 1, v7
	v_lshl_add_u32 v13, v9, 1, v8
	ds_read_u16 v10, v12
	ds_read_u16 v11, v13
	v_add_u32_e32 v8, v9, v6
	v_cmp_le_i32_e64 s[0:1], v4, v8
	v_cmp_gt_i32_e32 vcc, v5, v7
	s_waitcnt lgkmcnt(1)
	v_mov_b32_e32 v6, v10
	s_waitcnt lgkmcnt(0)
	v_cmp_gt_f16_e64 s[2:3], v10, v11
	s_or_b64 s[0:1], s[0:1], s[2:3]
	s_and_b64 vcc, vcc, s[0:1]
	s_xor_b64 s[0:1], vcc, -1
                                        ; implicit-def: $vgpr9
	s_and_saveexec_b64 s[2:3], s[0:1]
	s_xor_b64 s[0:1], exec, s[2:3]
; %bb.21:
	ds_read_u16 v9, v13 offset:2
                                        ; implicit-def: $vgpr12
; %bb.22:
	s_andn2_saveexec_b64 s[0:1], s[0:1]
	s_cbranch_execz .LBB5_24
; %bb.23:
	ds_read_u16 v6, v12 offset:2
	s_waitcnt lgkmcnt(1)
	v_mov_b32_e32 v9, v11
.LBB5_24:
	s_or_b64 exec, exec, s[0:1]
	v_add_u32_e32 v12, 1, v8
	v_cndmask_b32_e32 v10, v11, v10, vcc
	v_add_u32_e32 v11, 1, v7
	v_cndmask_b32_e32 v8, v12, v8, vcc
	v_cndmask_b32_e32 v7, v7, v11, vcc
	v_cmp_ge_i32_e64 s[0:1], v8, v4
	s_waitcnt lgkmcnt(0)
	v_cmp_gt_f16_e64 s[2:3], v6, v9
	v_cmp_lt_i32_e32 vcc, v7, v5
	s_or_b64 s[0:1], s[0:1], s[2:3]
	s_and_b64 vcc, vcc, s[0:1]
	v_cndmask_b32_e32 v4, v9, v6, vcc
	v_and_b32_e32 v6, 0x60, v3
	; wave barrier
	ds_write_b16 v2, v10
	ds_write_b16 v2, v4 offset:2
	v_or_b32_e32 v4, 16, v6
	v_add_u32_e32 v5, 32, v6
	v_and_b32_e32 v7, 30, v3
	v_sub_u32_e32 v9, v5, v4
	v_sub_u32_e32 v10, v4, v6
	;; [unrolled: 1-line block ×3, first 2 shown]
	v_cmp_ge_i32_e32 vcc, v7, v9
	v_cndmask_b32_e32 v9, 0, v11, vcc
	v_min_i32_e32 v10, v7, v10
	v_lshlrev_b32_e32 v8, 1, v6
	v_cmp_lt_i32_e32 vcc, v9, v10
	s_waitcnt lgkmcnt(0)
	; wave barrier
	s_and_saveexec_b64 s[0:1], vcc
	s_cbranch_execz .LBB5_28
; %bb.25:
	v_lshlrev_b32_e32 v11, 1, v7
	v_lshl_add_u32 v11, v4, 1, v11
	s_mov_b64 s[2:3], 0
.LBB5_26:                               ; =>This Inner Loop Header: Depth=1
	v_sub_u32_e32 v12, v10, v9
	v_lshrrev_b32_e32 v12, 1, v12
	v_add_u32_e32 v12, v12, v9
	v_not_b32_e32 v14, v12
	v_lshl_add_u32 v13, v12, 1, v8
	v_lshl_add_u32 v14, v14, 1, v11
	ds_read_u16 v13, v13
	ds_read_u16 v14, v14
	v_add_u32_e32 v15, 1, v12
	s_waitcnt lgkmcnt(0)
	v_cmp_gt_f16_e32 vcc, v14, v13
	v_cndmask_b32_e32 v10, v10, v12, vcc
	v_cndmask_b32_e32 v9, v15, v9, vcc
	v_cmp_ge_i32_e32 vcc, v9, v10
	s_or_b64 s[2:3], vcc, s[2:3]
	s_andn2_b64 exec, exec, s[2:3]
	s_cbranch_execnz .LBB5_26
; %bb.27:
	s_or_b64 exec, exec, s[2:3]
.LBB5_28:
	s_or_b64 exec, exec, s[0:1]
	v_add_u32_e32 v7, v4, v7
	v_sub_u32_e32 v7, v7, v9
	v_lshlrev_b32_e32 v12, 1, v7
	v_lshl_add_u32 v13, v9, 1, v8
	ds_read_u16 v10, v12
	ds_read_u16 v11, v13
	v_add_u32_e32 v8, v9, v6
	v_cmp_le_i32_e64 s[0:1], v4, v8
	v_cmp_gt_i32_e32 vcc, v5, v7
	s_waitcnt lgkmcnt(1)
	v_mov_b32_e32 v6, v10
	s_waitcnt lgkmcnt(0)
	v_cmp_gt_f16_e64 s[2:3], v10, v11
	s_or_b64 s[0:1], s[0:1], s[2:3]
	s_and_b64 vcc, vcc, s[0:1]
	s_xor_b64 s[0:1], vcc, -1
                                        ; implicit-def: $vgpr9
	s_and_saveexec_b64 s[2:3], s[0:1]
	s_xor_b64 s[0:1], exec, s[2:3]
; %bb.29:
	ds_read_u16 v9, v13 offset:2
                                        ; implicit-def: $vgpr12
; %bb.30:
	s_andn2_saveexec_b64 s[0:1], s[0:1]
	s_cbranch_execz .LBB5_32
; %bb.31:
	ds_read_u16 v6, v12 offset:2
	s_waitcnt lgkmcnt(1)
	v_mov_b32_e32 v9, v11
.LBB5_32:
	s_or_b64 exec, exec, s[0:1]
	v_add_u32_e32 v12, 1, v8
	v_cndmask_b32_e32 v10, v11, v10, vcc
	v_add_u32_e32 v11, 1, v7
	v_cndmask_b32_e32 v8, v12, v8, vcc
	v_cndmask_b32_e32 v7, v7, v11, vcc
	v_cmp_ge_i32_e64 s[0:1], v8, v4
	s_waitcnt lgkmcnt(0)
	v_cmp_gt_f16_e64 s[2:3], v6, v9
	v_cmp_lt_i32_e32 vcc, v7, v5
	s_or_b64 s[0:1], s[0:1], s[2:3]
	s_and_b64 vcc, vcc, s[0:1]
	v_cndmask_b32_e32 v4, v9, v6, vcc
	v_and_b32_e32 v6, 64, v3
	; wave barrier
	ds_write_b16 v2, v10
	ds_write_b16 v2, v4 offset:2
	v_or_b32_e32 v4, 32, v6
	v_add_u32_e32 v5, 64, v6
	v_and_b32_e32 v7, 62, v3
	v_sub_u32_e32 v9, v5, v4
	v_sub_u32_e32 v10, v4, v6
	;; [unrolled: 1-line block ×3, first 2 shown]
	v_cmp_ge_i32_e32 vcc, v7, v9
	v_cndmask_b32_e32 v9, 0, v11, vcc
	v_min_i32_e32 v10, v7, v10
	v_lshlrev_b32_e32 v8, 1, v6
	v_cmp_lt_i32_e32 vcc, v9, v10
	s_waitcnt lgkmcnt(0)
	; wave barrier
	s_and_saveexec_b64 s[0:1], vcc
	s_cbranch_execz .LBB5_36
; %bb.33:
	v_lshlrev_b32_e32 v11, 1, v7
	v_lshl_add_u32 v11, v4, 1, v11
	s_mov_b64 s[2:3], 0
.LBB5_34:                               ; =>This Inner Loop Header: Depth=1
	v_sub_u32_e32 v12, v10, v9
	v_lshrrev_b32_e32 v12, 1, v12
	v_add_u32_e32 v12, v12, v9
	v_not_b32_e32 v14, v12
	v_lshl_add_u32 v13, v12, 1, v8
	v_lshl_add_u32 v14, v14, 1, v11
	ds_read_u16 v13, v13
	ds_read_u16 v14, v14
	v_add_u32_e32 v15, 1, v12
	s_waitcnt lgkmcnt(0)
	v_cmp_gt_f16_e32 vcc, v14, v13
	v_cndmask_b32_e32 v10, v10, v12, vcc
	v_cndmask_b32_e32 v9, v15, v9, vcc
	v_cmp_ge_i32_e32 vcc, v9, v10
	s_or_b64 s[2:3], vcc, s[2:3]
	s_andn2_b64 exec, exec, s[2:3]
	s_cbranch_execnz .LBB5_34
; %bb.35:
	s_or_b64 exec, exec, s[2:3]
.LBB5_36:
	s_or_b64 exec, exec, s[0:1]
	v_add_u32_e32 v7, v4, v7
	v_sub_u32_e32 v7, v7, v9
	v_lshlrev_b32_e32 v12, 1, v7
	v_lshl_add_u32 v13, v9, 1, v8
	ds_read_u16 v10, v12
	ds_read_u16 v11, v13
	v_add_u32_e32 v8, v9, v6
	v_cmp_le_i32_e64 s[0:1], v4, v8
	v_cmp_gt_i32_e32 vcc, v5, v7
	s_waitcnt lgkmcnt(1)
	v_mov_b32_e32 v6, v10
	s_waitcnt lgkmcnt(0)
	v_cmp_gt_f16_e64 s[2:3], v10, v11
	s_or_b64 s[0:1], s[0:1], s[2:3]
	s_and_b64 vcc, vcc, s[0:1]
	s_xor_b64 s[0:1], vcc, -1
                                        ; implicit-def: $vgpr9
	s_and_saveexec_b64 s[2:3], s[0:1]
	s_xor_b64 s[0:1], exec, s[2:3]
; %bb.37:
	ds_read_u16 v9, v13 offset:2
                                        ; implicit-def: $vgpr12
; %bb.38:
	s_andn2_saveexec_b64 s[0:1], s[0:1]
	s_cbranch_execz .LBB5_40
; %bb.39:
	ds_read_u16 v6, v12 offset:2
	s_waitcnt lgkmcnt(1)
	v_mov_b32_e32 v9, v11
.LBB5_40:
	s_or_b64 exec, exec, s[0:1]
	v_add_u32_e32 v12, 1, v8
	v_cndmask_b32_e32 v10, v11, v10, vcc
	v_add_u32_e32 v11, 1, v7
	v_cndmask_b32_e32 v8, v12, v8, vcc
	v_cndmask_b32_e32 v7, v7, v11, vcc
	v_cmp_ge_i32_e64 s[0:1], v8, v4
	s_waitcnt lgkmcnt(0)
	v_cmp_gt_f16_e64 s[2:3], v6, v9
	v_cmp_lt_i32_e32 vcc, v7, v5
	s_or_b64 s[0:1], s[0:1], s[2:3]
	s_and_b64 vcc, vcc, s[0:1]
	v_cndmask_b32_e32 v4, v9, v6, vcc
	v_and_b32_e32 v3, 0x7e, v3
	; wave barrier
	ds_write_b16 v2, v10
	ds_write_b16 v2, v4 offset:2
	v_sub_u32_e64 v2, v3, 64 clamp
	v_min_i32_e32 v4, 64, v3
	v_cmp_lt_i32_e32 vcc, v2, v4
	s_waitcnt lgkmcnt(0)
	; wave barrier
	s_and_saveexec_b64 s[0:1], vcc
	s_cbranch_execz .LBB5_44
; %bb.41:
	v_lshlrev_b32_e32 v5, 1, v3
	v_lshl_add_u32 v5, 64, 1, v5
	s_mov_b64 s[2:3], 0
.LBB5_42:                               ; =>This Inner Loop Header: Depth=1
	v_sub_u32_e32 v6, v4, v2
	v_lshrrev_b32_e32 v6, 1, v6
	v_add_u32_e32 v6, v6, v2
	v_not_b32_e32 v8, v6
	v_lshlrev_b32_e32 v7, 1, v6
	v_lshl_add_u32 v8, v8, 1, v5
	ds_read_u16 v7, v7
	ds_read_u16 v8, v8
	v_add_u32_e32 v9, 1, v6
	s_waitcnt lgkmcnt(0)
	v_cmp_gt_f16_e32 vcc, v8, v7
	v_cndmask_b32_e32 v4, v4, v6, vcc
	v_cndmask_b32_e32 v2, v9, v2, vcc
	v_cmp_ge_i32_e32 vcc, v2, v4
	s_or_b64 s[2:3], vcc, s[2:3]
	s_andn2_b64 exec, exec, s[2:3]
	s_cbranch_execnz .LBB5_42
; %bb.43:
	s_or_b64 exec, exec, s[2:3]
.LBB5_44:
	s_or_b64 exec, exec, s[0:1]
	v_add_u32_e32 v3, 64, v3
	v_sub_u32_e32 v3, v3, v2
	v_lshlrev_b32_e32 v8, 1, v2
	v_lshlrev_b32_e32 v7, 1, v3
	ds_read_u16 v5, v8
	ds_read_u16 v4, v7
	s_movk_i32 s0, 0x7f
	v_cmp_lt_i32_e32 vcc, s0, v3
	v_cmp_gt_i32_e64 s[0:1], 64, v2
                                        ; implicit-def: $vgpr6
	s_waitcnt lgkmcnt(0)
	v_cmp_ngt_f16_e64 s[2:3], v4, v5
	s_and_b64 s[0:1], s[0:1], s[2:3]
	s_or_b64 s[0:1], vcc, s[0:1]
	s_and_saveexec_b64 s[2:3], s[0:1]
	s_xor_b64 s[0:1], exec, s[2:3]
; %bb.45:
	ds_read_u16 v6, v8 offset:2
	v_add_u32_e32 v2, 1, v2
                                        ; implicit-def: $vgpr7
; %bb.46:
	s_or_saveexec_b64 s[0:1], s[0:1]
	v_mov_b32_e32 v8, v5
	s_xor_b64 exec, exec, s[0:1]
	s_cbranch_execz .LBB5_48
; %bb.47:
	ds_read_u16 v7, v7 offset:2
	v_add_u32_e32 v3, 1, v3
	v_mov_b32_e32 v8, v4
	s_waitcnt lgkmcnt(1)
	v_mov_b32_e32 v6, v5
	s_waitcnt lgkmcnt(0)
	v_mov_b32_e32 v4, v7
.LBB5_48:
	s_or_b64 exec, exec, s[0:1]
	s_movk_i32 s0, 0x80
	v_cmp_gt_i32_e32 vcc, s0, v3
	v_cmp_le_i32_e64 s[0:1], 64, v2
	s_waitcnt lgkmcnt(0)
	v_cmp_gt_f16_e64 s[2:3], v4, v6
	s_or_b64 s[0:1], s[0:1], s[2:3]
	s_and_b64 vcc, vcc, s[0:1]
	v_cndmask_b32_e32 v2, v6, v4, vcc
	s_mov_b32 s0, 0x5040100
	v_perm_b32 v2, v2, v8, s0
	global_store_dword v[0:1], v2, off
	s_endpgm
	.section	.rodata,"a",@progbits
	.p2align	6, 0x0
	.amdhsa_kernel _Z15sort_key_kernelILj64ELj2E6__halfN10test_utils7greaterEEvPT1_T2_
		.amdhsa_group_segment_fixed_size 258
		.amdhsa_private_segment_fixed_size 0
		.amdhsa_kernarg_size 12
		.amdhsa_user_sgpr_count 6
		.amdhsa_user_sgpr_private_segment_buffer 1
		.amdhsa_user_sgpr_dispatch_ptr 0
		.amdhsa_user_sgpr_queue_ptr 0
		.amdhsa_user_sgpr_kernarg_segment_ptr 1
		.amdhsa_user_sgpr_dispatch_id 0
		.amdhsa_user_sgpr_flat_scratch_init 0
		.amdhsa_user_sgpr_private_segment_size 0
		.amdhsa_uses_dynamic_stack 0
		.amdhsa_system_sgpr_private_segment_wavefront_offset 0
		.amdhsa_system_sgpr_workgroup_id_x 1
		.amdhsa_system_sgpr_workgroup_id_y 0
		.amdhsa_system_sgpr_workgroup_id_z 0
		.amdhsa_system_sgpr_workgroup_info 0
		.amdhsa_system_vgpr_workitem_id 0
		.amdhsa_next_free_vgpr 16
		.amdhsa_next_free_sgpr 7
		.amdhsa_reserve_vcc 1
		.amdhsa_reserve_flat_scratch 0
		.amdhsa_float_round_mode_32 0
		.amdhsa_float_round_mode_16_64 0
		.amdhsa_float_denorm_mode_32 3
		.amdhsa_float_denorm_mode_16_64 3
		.amdhsa_dx10_clamp 1
		.amdhsa_ieee_mode 1
		.amdhsa_fp16_overflow 0
		.amdhsa_exception_fp_ieee_invalid_op 0
		.amdhsa_exception_fp_denorm_src 0
		.amdhsa_exception_fp_ieee_div_zero 0
		.amdhsa_exception_fp_ieee_overflow 0
		.amdhsa_exception_fp_ieee_underflow 0
		.amdhsa_exception_fp_ieee_inexact 0
		.amdhsa_exception_int_div_zero 0
	.end_amdhsa_kernel
	.section	.text._Z15sort_key_kernelILj64ELj2E6__halfN10test_utils7greaterEEvPT1_T2_,"axG",@progbits,_Z15sort_key_kernelILj64ELj2E6__halfN10test_utils7greaterEEvPT1_T2_,comdat
.Lfunc_end5:
	.size	_Z15sort_key_kernelILj64ELj2E6__halfN10test_utils7greaterEEvPT1_T2_, .Lfunc_end5-_Z15sort_key_kernelILj64ELj2E6__halfN10test_utils7greaterEEvPT1_T2_
                                        ; -- End function
	.set _Z15sort_key_kernelILj64ELj2E6__halfN10test_utils7greaterEEvPT1_T2_.num_vgpr, 16
	.set _Z15sort_key_kernelILj64ELj2E6__halfN10test_utils7greaterEEvPT1_T2_.num_agpr, 0
	.set _Z15sort_key_kernelILj64ELj2E6__halfN10test_utils7greaterEEvPT1_T2_.numbered_sgpr, 7
	.set _Z15sort_key_kernelILj64ELj2E6__halfN10test_utils7greaterEEvPT1_T2_.num_named_barrier, 0
	.set _Z15sort_key_kernelILj64ELj2E6__halfN10test_utils7greaterEEvPT1_T2_.private_seg_size, 0
	.set _Z15sort_key_kernelILj64ELj2E6__halfN10test_utils7greaterEEvPT1_T2_.uses_vcc, 1
	.set _Z15sort_key_kernelILj64ELj2E6__halfN10test_utils7greaterEEvPT1_T2_.uses_flat_scratch, 0
	.set _Z15sort_key_kernelILj64ELj2E6__halfN10test_utils7greaterEEvPT1_T2_.has_dyn_sized_stack, 0
	.set _Z15sort_key_kernelILj64ELj2E6__halfN10test_utils7greaterEEvPT1_T2_.has_recursion, 0
	.set _Z15sort_key_kernelILj64ELj2E6__halfN10test_utils7greaterEEvPT1_T2_.has_indirect_call, 0
	.section	.AMDGPU.csdata,"",@progbits
; Kernel info:
; codeLenInByte = 2300
; TotalNumSgprs: 11
; NumVgprs: 16
; ScratchSize: 0
; MemoryBound: 0
; FloatMode: 240
; IeeeMode: 1
; LDSByteSize: 258 bytes/workgroup (compile time only)
; SGPRBlocks: 1
; VGPRBlocks: 3
; NumSGPRsForWavesPerEU: 11
; NumVGPRsForWavesPerEU: 16
; Occupancy: 10
; WaveLimiterHint : 0
; COMPUTE_PGM_RSRC2:SCRATCH_EN: 0
; COMPUTE_PGM_RSRC2:USER_SGPR: 6
; COMPUTE_PGM_RSRC2:TRAP_HANDLER: 0
; COMPUTE_PGM_RSRC2:TGID_X_EN: 1
; COMPUTE_PGM_RSRC2:TGID_Y_EN: 0
; COMPUTE_PGM_RSRC2:TGID_Z_EN: 0
; COMPUTE_PGM_RSRC2:TIDIG_COMP_CNT: 0
	.section	.text._Z15sort_key_kernelILj64ELj2EfN10test_utils7greaterEEvPT1_T2_,"axG",@progbits,_Z15sort_key_kernelILj64ELj2EfN10test_utils7greaterEEvPT1_T2_,comdat
	.protected	_Z15sort_key_kernelILj64ELj2EfN10test_utils7greaterEEvPT1_T2_ ; -- Begin function _Z15sort_key_kernelILj64ELj2EfN10test_utils7greaterEEvPT1_T2_
	.globl	_Z15sort_key_kernelILj64ELj2EfN10test_utils7greaterEEvPT1_T2_
	.p2align	8
	.type	_Z15sort_key_kernelILj64ELj2EfN10test_utils7greaterEEvPT1_T2_,@function
_Z15sort_key_kernelILj64ELj2EfN10test_utils7greaterEEvPT1_T2_: ; @_Z15sort_key_kernelILj64ELj2EfN10test_utils7greaterEEvPT1_T2_
; %bb.0:
	s_load_dwordx2 s[0:1], s[4:5], 0x0
	s_lshl_b32 s2, s6, 7
	s_mov_b32 s3, 0
	s_lshl_b64 s[2:3], s[2:3], 2
	v_lshlrev_b32_e32 v2, 3, v0
	s_waitcnt lgkmcnt(0)
	s_add_u32 s0, s0, s2
	s_addc_u32 s1, s1, s3
	global_load_dwordx2 v[11:12], v2, s[0:1]
	v_lshlrev_b32_e32 v3, 1, v0
	v_and_b32_e32 v6, 0x7c, v3
	v_or_b32_e32 v4, 2, v6
	v_add_u32_e32 v5, 4, v6
	v_and_b32_e32 v7, 2, v3
	v_sub_u32_e32 v1, v5, v4
	v_sub_u32_e32 v0, v4, v6
	;; [unrolled: 1-line block ×3, first 2 shown]
	v_cmp_ge_i32_e32 vcc, v7, v1
	v_min_i32_e32 v10, v7, v0
	v_cndmask_b32_e32 v9, 0, v9, vcc
	v_mov_b32_e32 v1, s1
	v_add_co_u32_e32 v0, vcc, s0, v2
	v_addc_co_u32_e32 v1, vcc, 0, v1, vcc
	v_lshlrev_b32_e32 v8, 2, v6
	s_waitcnt vmcnt(0)
	; wave barrier
	v_cmp_gt_f32_e32 vcc, v12, v11
	v_cndmask_b32_e32 v13, v12, v11, vcc
	v_cndmask_b32_e32 v11, v11, v12, vcc
	v_cmp_lt_i32_e32 vcc, v9, v10
	ds_write2_b32 v2, v11, v13 offset1:1
	s_waitcnt lgkmcnt(0)
	; wave barrier
	s_and_saveexec_b64 s[0:1], vcc
	s_cbranch_execz .LBB6_4
; %bb.1:
	v_lshlrev_b32_e32 v11, 2, v7
	v_lshl_add_u32 v11, v4, 2, v11
	s_mov_b64 s[2:3], 0
.LBB6_2:                                ; =>This Inner Loop Header: Depth=1
	v_sub_u32_e32 v12, v10, v9
	v_lshrrev_b32_e32 v12, 1, v12
	v_add_u32_e32 v12, v12, v9
	v_not_b32_e32 v14, v12
	v_lshl_add_u32 v13, v12, 2, v8
	v_lshl_add_u32 v14, v14, 2, v11
	ds_read_b32 v13, v13
	ds_read_b32 v14, v14
	v_add_u32_e32 v15, 1, v12
	s_waitcnt lgkmcnt(0)
	v_cmp_gt_f32_e32 vcc, v14, v13
	v_cndmask_b32_e32 v10, v10, v12, vcc
	v_cndmask_b32_e32 v9, v15, v9, vcc
	v_cmp_ge_i32_e32 vcc, v9, v10
	s_or_b64 s[2:3], vcc, s[2:3]
	s_andn2_b64 exec, exec, s[2:3]
	s_cbranch_execnz .LBB6_2
; %bb.3:
	s_or_b64 exec, exec, s[2:3]
.LBB6_4:
	s_or_b64 exec, exec, s[0:1]
	v_add_u32_e32 v7, v4, v7
	v_sub_u32_e32 v7, v7, v9
	v_lshl_add_u32 v12, v9, 2, v8
	v_lshlrev_b32_e32 v11, 2, v7
	ds_read_b32 v8, v12
	ds_read_b32 v10, v11
	v_add_u32_e32 v6, v9, v6
	v_cmp_le_i32_e64 s[0:1], v4, v6
	v_cmp_gt_i32_e32 vcc, v5, v7
                                        ; implicit-def: $vgpr9
	s_waitcnt lgkmcnt(0)
	v_cmp_gt_f32_e64 s[2:3], v10, v8
	s_or_b64 s[0:1], s[0:1], s[2:3]
	s_and_b64 vcc, vcc, s[0:1]
	s_xor_b64 s[0:1], vcc, -1
	s_and_saveexec_b64 s[2:3], s[0:1]
	s_xor_b64 s[0:1], exec, s[2:3]
; %bb.5:
	ds_read_b32 v9, v12 offset:4
                                        ; implicit-def: $vgpr11
; %bb.6:
	s_or_saveexec_b64 s[0:1], s[0:1]
	v_mov_b32_e32 v12, v10
	s_xor_b64 exec, exec, s[0:1]
	s_cbranch_execz .LBB6_8
; %bb.7:
	ds_read_b32 v12, v11 offset:4
	s_waitcnt lgkmcnt(1)
	v_mov_b32_e32 v9, v8
.LBB6_8:
	s_or_b64 exec, exec, s[0:1]
	v_add_u32_e32 v11, 1, v6
	v_cndmask_b32_e32 v8, v8, v10, vcc
	v_add_u32_e32 v10, 1, v7
	v_cndmask_b32_e32 v6, v11, v6, vcc
	v_cndmask_b32_e32 v7, v7, v10, vcc
	v_cmp_ge_i32_e64 s[0:1], v6, v4
	s_waitcnt lgkmcnt(0)
	v_cmp_gt_f32_e64 s[2:3], v12, v9
	v_cmp_lt_i32_e32 vcc, v7, v5
	s_or_b64 s[0:1], s[0:1], s[2:3]
	s_and_b64 vcc, vcc, s[0:1]
	v_cndmask_b32_e32 v4, v9, v12, vcc
	v_and_b32_e32 v6, 0x78, v3
	; wave barrier
	ds_write2_b32 v2, v8, v4 offset1:1
	v_or_b32_e32 v4, 4, v6
	v_add_u32_e32 v5, 8, v6
	v_and_b32_e32 v7, 6, v3
	v_sub_u32_e32 v8, v5, v4
	v_sub_u32_e32 v10, v4, v6
	v_sub_u32_e32 v11, v7, v8
	v_cmp_ge_i32_e32 vcc, v7, v8
	v_cndmask_b32_e32 v8, 0, v11, vcc
	v_min_i32_e32 v10, v7, v10
	v_lshlrev_b32_e32 v9, 2, v6
	v_cmp_lt_i32_e32 vcc, v8, v10
	s_waitcnt lgkmcnt(0)
	; wave barrier
	s_and_saveexec_b64 s[0:1], vcc
	s_cbranch_execz .LBB6_12
; %bb.9:
	v_lshlrev_b32_e32 v11, 2, v7
	v_lshl_add_u32 v11, v4, 2, v11
	s_mov_b64 s[2:3], 0
.LBB6_10:                               ; =>This Inner Loop Header: Depth=1
	v_sub_u32_e32 v12, v10, v8
	v_lshrrev_b32_e32 v12, 1, v12
	v_add_u32_e32 v12, v12, v8
	v_not_b32_e32 v14, v12
	v_lshl_add_u32 v13, v12, 2, v9
	v_lshl_add_u32 v14, v14, 2, v11
	ds_read_b32 v13, v13
	ds_read_b32 v14, v14
	v_add_u32_e32 v15, 1, v12
	s_waitcnt lgkmcnt(0)
	v_cmp_gt_f32_e32 vcc, v14, v13
	v_cndmask_b32_e32 v10, v10, v12, vcc
	v_cndmask_b32_e32 v8, v15, v8, vcc
	v_cmp_ge_i32_e32 vcc, v8, v10
	s_or_b64 s[2:3], vcc, s[2:3]
	s_andn2_b64 exec, exec, s[2:3]
	s_cbranch_execnz .LBB6_10
; %bb.11:
	s_or_b64 exec, exec, s[2:3]
.LBB6_12:
	s_or_b64 exec, exec, s[0:1]
	v_add_u32_e32 v7, v4, v7
	v_sub_u32_e32 v7, v7, v8
	v_lshl_add_u32 v12, v8, 2, v9
	v_lshlrev_b32_e32 v11, 2, v7
	ds_read_b32 v9, v12
	ds_read_b32 v10, v11
	v_add_u32_e32 v6, v8, v6
	v_cmp_le_i32_e64 s[0:1], v4, v6
	v_cmp_gt_i32_e32 vcc, v5, v7
                                        ; implicit-def: $vgpr8
	s_waitcnt lgkmcnt(0)
	v_cmp_gt_f32_e64 s[2:3], v10, v9
	s_or_b64 s[0:1], s[0:1], s[2:3]
	s_and_b64 vcc, vcc, s[0:1]
	s_xor_b64 s[0:1], vcc, -1
	s_and_saveexec_b64 s[2:3], s[0:1]
	s_xor_b64 s[0:1], exec, s[2:3]
; %bb.13:
	ds_read_b32 v8, v12 offset:4
                                        ; implicit-def: $vgpr11
; %bb.14:
	s_or_saveexec_b64 s[0:1], s[0:1]
	v_mov_b32_e32 v12, v10
	s_xor_b64 exec, exec, s[0:1]
	s_cbranch_execz .LBB6_16
; %bb.15:
	ds_read_b32 v12, v11 offset:4
	s_waitcnt lgkmcnt(1)
	v_mov_b32_e32 v8, v9
.LBB6_16:
	s_or_b64 exec, exec, s[0:1]
	v_add_u32_e32 v11, 1, v6
	v_cndmask_b32_e32 v9, v9, v10, vcc
	v_add_u32_e32 v10, 1, v7
	v_cndmask_b32_e32 v6, v11, v6, vcc
	v_cndmask_b32_e32 v7, v7, v10, vcc
	v_cmp_ge_i32_e64 s[0:1], v6, v4
	s_waitcnt lgkmcnt(0)
	v_cmp_gt_f32_e64 s[2:3], v12, v8
	v_cmp_lt_i32_e32 vcc, v7, v5
	s_or_b64 s[0:1], s[0:1], s[2:3]
	s_and_b64 vcc, vcc, s[0:1]
	v_cndmask_b32_e32 v4, v8, v12, vcc
	v_and_b32_e32 v6, 0x70, v3
	; wave barrier
	ds_write2_b32 v2, v9, v4 offset1:1
	v_or_b32_e32 v4, 8, v6
	v_add_u32_e32 v5, 16, v6
	v_and_b32_e32 v7, 14, v3
	v_sub_u32_e32 v8, v5, v4
	v_sub_u32_e32 v10, v4, v6
	;; [unrolled: 1-line block ×3, first 2 shown]
	v_cmp_ge_i32_e32 vcc, v7, v8
	v_cndmask_b32_e32 v8, 0, v11, vcc
	v_min_i32_e32 v10, v7, v10
	v_lshlrev_b32_e32 v9, 2, v6
	v_cmp_lt_i32_e32 vcc, v8, v10
	s_waitcnt lgkmcnt(0)
	; wave barrier
	s_and_saveexec_b64 s[0:1], vcc
	s_cbranch_execz .LBB6_20
; %bb.17:
	v_lshlrev_b32_e32 v11, 2, v7
	v_lshl_add_u32 v11, v4, 2, v11
	s_mov_b64 s[2:3], 0
.LBB6_18:                               ; =>This Inner Loop Header: Depth=1
	v_sub_u32_e32 v12, v10, v8
	v_lshrrev_b32_e32 v12, 1, v12
	v_add_u32_e32 v12, v12, v8
	v_not_b32_e32 v14, v12
	v_lshl_add_u32 v13, v12, 2, v9
	v_lshl_add_u32 v14, v14, 2, v11
	ds_read_b32 v13, v13
	ds_read_b32 v14, v14
	v_add_u32_e32 v15, 1, v12
	s_waitcnt lgkmcnt(0)
	v_cmp_gt_f32_e32 vcc, v14, v13
	v_cndmask_b32_e32 v10, v10, v12, vcc
	v_cndmask_b32_e32 v8, v15, v8, vcc
	v_cmp_ge_i32_e32 vcc, v8, v10
	s_or_b64 s[2:3], vcc, s[2:3]
	s_andn2_b64 exec, exec, s[2:3]
	s_cbranch_execnz .LBB6_18
; %bb.19:
	s_or_b64 exec, exec, s[2:3]
.LBB6_20:
	s_or_b64 exec, exec, s[0:1]
	v_add_u32_e32 v7, v4, v7
	v_sub_u32_e32 v7, v7, v8
	v_lshl_add_u32 v12, v8, 2, v9
	v_lshlrev_b32_e32 v11, 2, v7
	ds_read_b32 v9, v12
	ds_read_b32 v10, v11
	v_add_u32_e32 v6, v8, v6
	v_cmp_le_i32_e64 s[0:1], v4, v6
	v_cmp_gt_i32_e32 vcc, v5, v7
                                        ; implicit-def: $vgpr8
	s_waitcnt lgkmcnt(0)
	v_cmp_gt_f32_e64 s[2:3], v10, v9
	s_or_b64 s[0:1], s[0:1], s[2:3]
	s_and_b64 vcc, vcc, s[0:1]
	s_xor_b64 s[0:1], vcc, -1
	s_and_saveexec_b64 s[2:3], s[0:1]
	s_xor_b64 s[0:1], exec, s[2:3]
; %bb.21:
	ds_read_b32 v8, v12 offset:4
                                        ; implicit-def: $vgpr11
; %bb.22:
	s_or_saveexec_b64 s[0:1], s[0:1]
	v_mov_b32_e32 v12, v10
	s_xor_b64 exec, exec, s[0:1]
	s_cbranch_execz .LBB6_24
; %bb.23:
	ds_read_b32 v12, v11 offset:4
	s_waitcnt lgkmcnt(1)
	v_mov_b32_e32 v8, v9
.LBB6_24:
	s_or_b64 exec, exec, s[0:1]
	v_add_u32_e32 v11, 1, v6
	v_cndmask_b32_e32 v9, v9, v10, vcc
	v_add_u32_e32 v10, 1, v7
	v_cndmask_b32_e32 v6, v11, v6, vcc
	v_cndmask_b32_e32 v7, v7, v10, vcc
	v_cmp_ge_i32_e64 s[0:1], v6, v4
	s_waitcnt lgkmcnt(0)
	v_cmp_gt_f32_e64 s[2:3], v12, v8
	v_cmp_lt_i32_e32 vcc, v7, v5
	s_or_b64 s[0:1], s[0:1], s[2:3]
	s_and_b64 vcc, vcc, s[0:1]
	v_cndmask_b32_e32 v4, v8, v12, vcc
	v_and_b32_e32 v6, 0x60, v3
	; wave barrier
	ds_write2_b32 v2, v9, v4 offset1:1
	v_or_b32_e32 v4, 16, v6
	v_add_u32_e32 v5, 32, v6
	v_and_b32_e32 v7, 30, v3
	v_sub_u32_e32 v8, v5, v4
	v_sub_u32_e32 v10, v4, v6
	;; [unrolled: 1-line block ×3, first 2 shown]
	v_cmp_ge_i32_e32 vcc, v7, v8
	v_cndmask_b32_e32 v8, 0, v11, vcc
	v_min_i32_e32 v10, v7, v10
	v_lshlrev_b32_e32 v9, 2, v6
	v_cmp_lt_i32_e32 vcc, v8, v10
	s_waitcnt lgkmcnt(0)
	; wave barrier
	s_and_saveexec_b64 s[0:1], vcc
	s_cbranch_execz .LBB6_28
; %bb.25:
	v_lshlrev_b32_e32 v11, 2, v7
	v_lshl_add_u32 v11, v4, 2, v11
	s_mov_b64 s[2:3], 0
.LBB6_26:                               ; =>This Inner Loop Header: Depth=1
	v_sub_u32_e32 v12, v10, v8
	v_lshrrev_b32_e32 v12, 1, v12
	v_add_u32_e32 v12, v12, v8
	v_not_b32_e32 v14, v12
	v_lshl_add_u32 v13, v12, 2, v9
	v_lshl_add_u32 v14, v14, 2, v11
	ds_read_b32 v13, v13
	ds_read_b32 v14, v14
	v_add_u32_e32 v15, 1, v12
	s_waitcnt lgkmcnt(0)
	v_cmp_gt_f32_e32 vcc, v14, v13
	v_cndmask_b32_e32 v10, v10, v12, vcc
	v_cndmask_b32_e32 v8, v15, v8, vcc
	v_cmp_ge_i32_e32 vcc, v8, v10
	s_or_b64 s[2:3], vcc, s[2:3]
	s_andn2_b64 exec, exec, s[2:3]
	s_cbranch_execnz .LBB6_26
; %bb.27:
	s_or_b64 exec, exec, s[2:3]
.LBB6_28:
	s_or_b64 exec, exec, s[0:1]
	v_add_u32_e32 v7, v4, v7
	v_sub_u32_e32 v7, v7, v8
	v_lshl_add_u32 v12, v8, 2, v9
	v_lshlrev_b32_e32 v11, 2, v7
	ds_read_b32 v9, v12
	ds_read_b32 v10, v11
	v_add_u32_e32 v6, v8, v6
	v_cmp_le_i32_e64 s[0:1], v4, v6
	v_cmp_gt_i32_e32 vcc, v5, v7
                                        ; implicit-def: $vgpr8
	s_waitcnt lgkmcnt(0)
	v_cmp_gt_f32_e64 s[2:3], v10, v9
	s_or_b64 s[0:1], s[0:1], s[2:3]
	s_and_b64 vcc, vcc, s[0:1]
	s_xor_b64 s[0:1], vcc, -1
	s_and_saveexec_b64 s[2:3], s[0:1]
	s_xor_b64 s[0:1], exec, s[2:3]
; %bb.29:
	ds_read_b32 v8, v12 offset:4
                                        ; implicit-def: $vgpr11
; %bb.30:
	s_or_saveexec_b64 s[0:1], s[0:1]
	v_mov_b32_e32 v12, v10
	s_xor_b64 exec, exec, s[0:1]
	s_cbranch_execz .LBB6_32
; %bb.31:
	ds_read_b32 v12, v11 offset:4
	s_waitcnt lgkmcnt(1)
	v_mov_b32_e32 v8, v9
.LBB6_32:
	s_or_b64 exec, exec, s[0:1]
	v_add_u32_e32 v11, 1, v6
	v_cndmask_b32_e32 v9, v9, v10, vcc
	v_add_u32_e32 v10, 1, v7
	v_cndmask_b32_e32 v6, v11, v6, vcc
	v_cndmask_b32_e32 v7, v7, v10, vcc
	v_cmp_ge_i32_e64 s[0:1], v6, v4
	s_waitcnt lgkmcnt(0)
	v_cmp_gt_f32_e64 s[2:3], v12, v8
	v_cmp_lt_i32_e32 vcc, v7, v5
	s_or_b64 s[0:1], s[0:1], s[2:3]
	s_and_b64 vcc, vcc, s[0:1]
	v_cndmask_b32_e32 v4, v8, v12, vcc
	v_and_b32_e32 v6, 64, v3
	; wave barrier
	ds_write2_b32 v2, v9, v4 offset1:1
	v_or_b32_e32 v4, 32, v6
	v_add_u32_e32 v5, 64, v6
	v_and_b32_e32 v7, 62, v3
	v_sub_u32_e32 v8, v5, v4
	v_sub_u32_e32 v10, v4, v6
	;; [unrolled: 1-line block ×3, first 2 shown]
	v_cmp_ge_i32_e32 vcc, v7, v8
	v_cndmask_b32_e32 v8, 0, v11, vcc
	v_min_i32_e32 v10, v7, v10
	v_lshlrev_b32_e32 v9, 2, v6
	v_cmp_lt_i32_e32 vcc, v8, v10
	s_waitcnt lgkmcnt(0)
	; wave barrier
	s_and_saveexec_b64 s[0:1], vcc
	s_cbranch_execz .LBB6_36
; %bb.33:
	v_lshlrev_b32_e32 v11, 2, v7
	v_lshl_add_u32 v11, v4, 2, v11
	s_mov_b64 s[2:3], 0
.LBB6_34:                               ; =>This Inner Loop Header: Depth=1
	v_sub_u32_e32 v12, v10, v8
	v_lshrrev_b32_e32 v12, 1, v12
	v_add_u32_e32 v12, v12, v8
	v_not_b32_e32 v14, v12
	v_lshl_add_u32 v13, v12, 2, v9
	v_lshl_add_u32 v14, v14, 2, v11
	ds_read_b32 v13, v13
	ds_read_b32 v14, v14
	v_add_u32_e32 v15, 1, v12
	s_waitcnt lgkmcnt(0)
	v_cmp_gt_f32_e32 vcc, v14, v13
	v_cndmask_b32_e32 v10, v10, v12, vcc
	v_cndmask_b32_e32 v8, v15, v8, vcc
	v_cmp_ge_i32_e32 vcc, v8, v10
	s_or_b64 s[2:3], vcc, s[2:3]
	s_andn2_b64 exec, exec, s[2:3]
	s_cbranch_execnz .LBB6_34
; %bb.35:
	s_or_b64 exec, exec, s[2:3]
.LBB6_36:
	s_or_b64 exec, exec, s[0:1]
	v_add_u32_e32 v7, v4, v7
	v_sub_u32_e32 v7, v7, v8
	v_lshl_add_u32 v12, v8, 2, v9
	v_lshlrev_b32_e32 v11, 2, v7
	ds_read_b32 v9, v12
	ds_read_b32 v10, v11
	v_add_u32_e32 v6, v8, v6
	v_cmp_le_i32_e64 s[0:1], v4, v6
	v_cmp_gt_i32_e32 vcc, v5, v7
                                        ; implicit-def: $vgpr8
	s_waitcnt lgkmcnt(0)
	v_cmp_gt_f32_e64 s[2:3], v10, v9
	s_or_b64 s[0:1], s[0:1], s[2:3]
	s_and_b64 vcc, vcc, s[0:1]
	s_xor_b64 s[0:1], vcc, -1
	s_and_saveexec_b64 s[2:3], s[0:1]
	s_xor_b64 s[0:1], exec, s[2:3]
; %bb.37:
	ds_read_b32 v8, v12 offset:4
                                        ; implicit-def: $vgpr11
; %bb.38:
	s_or_saveexec_b64 s[0:1], s[0:1]
	v_mov_b32_e32 v12, v10
	s_xor_b64 exec, exec, s[0:1]
	s_cbranch_execz .LBB6_40
; %bb.39:
	ds_read_b32 v12, v11 offset:4
	s_waitcnt lgkmcnt(1)
	v_mov_b32_e32 v8, v9
.LBB6_40:
	s_or_b64 exec, exec, s[0:1]
	v_add_u32_e32 v11, 1, v6
	v_cndmask_b32_e32 v9, v9, v10, vcc
	v_add_u32_e32 v10, 1, v7
	v_cndmask_b32_e32 v6, v11, v6, vcc
	v_cndmask_b32_e32 v7, v7, v10, vcc
	v_cmp_ge_i32_e64 s[0:1], v6, v4
	s_waitcnt lgkmcnt(0)
	v_cmp_gt_f32_e64 s[2:3], v12, v8
	v_cmp_lt_i32_e32 vcc, v7, v5
	s_or_b64 s[0:1], s[0:1], s[2:3]
	s_and_b64 vcc, vcc, s[0:1]
	v_cndmask_b32_e32 v4, v8, v12, vcc
	; wave barrier
	ds_write2_b32 v2, v9, v4 offset1:1
	v_and_b32_e32 v2, 0x7e, v3
	v_sub_u32_e64 v3, v2, 64 clamp
	v_min_i32_e32 v4, 64, v2
	v_cmp_lt_i32_e32 vcc, v3, v4
	s_waitcnt lgkmcnt(0)
	; wave barrier
	s_and_saveexec_b64 s[0:1], vcc
	s_cbranch_execz .LBB6_44
; %bb.41:
	v_lshlrev_b32_e32 v5, 2, v2
	v_lshl_add_u32 v5, 64, 2, v5
	s_mov_b64 s[2:3], 0
.LBB6_42:                               ; =>This Inner Loop Header: Depth=1
	v_sub_u32_e32 v6, v4, v3
	v_lshrrev_b32_e32 v6, 1, v6
	v_add_u32_e32 v6, v6, v3
	v_not_b32_e32 v8, v6
	v_lshlrev_b32_e32 v7, 2, v6
	v_lshl_add_u32 v8, v8, 2, v5
	ds_read_b32 v7, v7
	ds_read_b32 v8, v8
	v_add_u32_e32 v9, 1, v6
	s_waitcnt lgkmcnt(0)
	v_cmp_gt_f32_e32 vcc, v8, v7
	v_cndmask_b32_e32 v4, v4, v6, vcc
	v_cndmask_b32_e32 v3, v9, v3, vcc
	v_cmp_ge_i32_e32 vcc, v3, v4
	s_or_b64 s[2:3], vcc, s[2:3]
	s_andn2_b64 exec, exec, s[2:3]
	s_cbranch_execnz .LBB6_42
; %bb.43:
	s_or_b64 exec, exec, s[2:3]
.LBB6_44:
	s_or_b64 exec, exec, s[0:1]
	v_add_u32_e32 v2, 64, v2
	v_sub_u32_e32 v4, v2, v3
	v_lshlrev_b32_e32 v2, 2, v3
	v_lshlrev_b32_e32 v8, 2, v4
	ds_read_b32 v6, v2
	ds_read_b32 v5, v8
	s_movk_i32 s0, 0x7f
	v_cmp_lt_i32_e32 vcc, s0, v4
	v_cmp_gt_i32_e64 s[0:1], 64, v3
                                        ; implicit-def: $vgpr7
	s_waitcnt lgkmcnt(0)
	v_cmp_ngt_f32_e64 s[2:3], v5, v6
	s_and_b64 s[0:1], s[0:1], s[2:3]
	s_or_b64 s[0:1], vcc, s[0:1]
	s_and_saveexec_b64 s[2:3], s[0:1]
	s_xor_b64 s[0:1], exec, s[2:3]
; %bb.45:
	ds_read_b32 v7, v2 offset:4
	v_add_u32_e32 v3, 1, v3
                                        ; implicit-def: $vgpr8
; %bb.46:
	s_or_saveexec_b64 s[0:1], s[0:1]
	v_mov_b32_e32 v2, v6
	s_xor_b64 exec, exec, s[0:1]
	s_cbranch_execz .LBB6_48
; %bb.47:
	ds_read_b32 v8, v8 offset:4
	v_add_u32_e32 v4, 1, v4
	v_mov_b32_e32 v2, v5
	s_waitcnt lgkmcnt(1)
	v_mov_b32_e32 v7, v6
	s_waitcnt lgkmcnt(0)
	v_mov_b32_e32 v5, v8
.LBB6_48:
	s_or_b64 exec, exec, s[0:1]
	s_movk_i32 s0, 0x80
	v_cmp_gt_i32_e32 vcc, s0, v4
	v_cmp_le_i32_e64 s[0:1], 64, v3
	s_waitcnt lgkmcnt(0)
	v_cmp_gt_f32_e64 s[2:3], v5, v7
	s_or_b64 s[0:1], s[0:1], s[2:3]
	s_and_b64 vcc, vcc, s[0:1]
	v_cndmask_b32_e32 v3, v7, v5, vcc
	global_store_dwordx2 v[0:1], v[2:3], off
	s_endpgm
	.section	.rodata,"a",@progbits
	.p2align	6, 0x0
	.amdhsa_kernel _Z15sort_key_kernelILj64ELj2EfN10test_utils7greaterEEvPT1_T2_
		.amdhsa_group_segment_fixed_size 516
		.amdhsa_private_segment_fixed_size 0
		.amdhsa_kernarg_size 12
		.amdhsa_user_sgpr_count 6
		.amdhsa_user_sgpr_private_segment_buffer 1
		.amdhsa_user_sgpr_dispatch_ptr 0
		.amdhsa_user_sgpr_queue_ptr 0
		.amdhsa_user_sgpr_kernarg_segment_ptr 1
		.amdhsa_user_sgpr_dispatch_id 0
		.amdhsa_user_sgpr_flat_scratch_init 0
		.amdhsa_user_sgpr_private_segment_size 0
		.amdhsa_uses_dynamic_stack 0
		.amdhsa_system_sgpr_private_segment_wavefront_offset 0
		.amdhsa_system_sgpr_workgroup_id_x 1
		.amdhsa_system_sgpr_workgroup_id_y 0
		.amdhsa_system_sgpr_workgroup_id_z 0
		.amdhsa_system_sgpr_workgroup_info 0
		.amdhsa_system_vgpr_workitem_id 0
		.amdhsa_next_free_vgpr 16
		.amdhsa_next_free_sgpr 7
		.amdhsa_reserve_vcc 1
		.amdhsa_reserve_flat_scratch 0
		.amdhsa_float_round_mode_32 0
		.amdhsa_float_round_mode_16_64 0
		.amdhsa_float_denorm_mode_32 3
		.amdhsa_float_denorm_mode_16_64 3
		.amdhsa_dx10_clamp 1
		.amdhsa_ieee_mode 1
		.amdhsa_fp16_overflow 0
		.amdhsa_exception_fp_ieee_invalid_op 0
		.amdhsa_exception_fp_denorm_src 0
		.amdhsa_exception_fp_ieee_div_zero 0
		.amdhsa_exception_fp_ieee_overflow 0
		.amdhsa_exception_fp_ieee_underflow 0
		.amdhsa_exception_fp_ieee_inexact 0
		.amdhsa_exception_int_div_zero 0
	.end_amdhsa_kernel
	.section	.text._Z15sort_key_kernelILj64ELj2EfN10test_utils7greaterEEvPT1_T2_,"axG",@progbits,_Z15sort_key_kernelILj64ELj2EfN10test_utils7greaterEEvPT1_T2_,comdat
.Lfunc_end6:
	.size	_Z15sort_key_kernelILj64ELj2EfN10test_utils7greaterEEvPT1_T2_, .Lfunc_end6-_Z15sort_key_kernelILj64ELj2EfN10test_utils7greaterEEvPT1_T2_
                                        ; -- End function
	.set _Z15sort_key_kernelILj64ELj2EfN10test_utils7greaterEEvPT1_T2_.num_vgpr, 16
	.set _Z15sort_key_kernelILj64ELj2EfN10test_utils7greaterEEvPT1_T2_.num_agpr, 0
	.set _Z15sort_key_kernelILj64ELj2EfN10test_utils7greaterEEvPT1_T2_.numbered_sgpr, 7
	.set _Z15sort_key_kernelILj64ELj2EfN10test_utils7greaterEEvPT1_T2_.num_named_barrier, 0
	.set _Z15sort_key_kernelILj64ELj2EfN10test_utils7greaterEEvPT1_T2_.private_seg_size, 0
	.set _Z15sort_key_kernelILj64ELj2EfN10test_utils7greaterEEvPT1_T2_.uses_vcc, 1
	.set _Z15sort_key_kernelILj64ELj2EfN10test_utils7greaterEEvPT1_T2_.uses_flat_scratch, 0
	.set _Z15sort_key_kernelILj64ELj2EfN10test_utils7greaterEEvPT1_T2_.has_dyn_sized_stack, 0
	.set _Z15sort_key_kernelILj64ELj2EfN10test_utils7greaterEEvPT1_T2_.has_recursion, 0
	.set _Z15sort_key_kernelILj64ELj2EfN10test_utils7greaterEEvPT1_T2_.has_indirect_call, 0
	.section	.AMDGPU.csdata,"",@progbits
; Kernel info:
; codeLenInByte = 2232
; TotalNumSgprs: 11
; NumVgprs: 16
; ScratchSize: 0
; MemoryBound: 0
; FloatMode: 240
; IeeeMode: 1
; LDSByteSize: 516 bytes/workgroup (compile time only)
; SGPRBlocks: 1
; VGPRBlocks: 3
; NumSGPRsForWavesPerEU: 11
; NumVGPRsForWavesPerEU: 16
; Occupancy: 10
; WaveLimiterHint : 0
; COMPUTE_PGM_RSRC2:SCRATCH_EN: 0
; COMPUTE_PGM_RSRC2:USER_SGPR: 6
; COMPUTE_PGM_RSRC2:TRAP_HANDLER: 0
; COMPUTE_PGM_RSRC2:TGID_X_EN: 1
; COMPUTE_PGM_RSRC2:TGID_Y_EN: 0
; COMPUTE_PGM_RSRC2:TGID_Z_EN: 0
; COMPUTE_PGM_RSRC2:TIDIG_COMP_CNT: 0
	.section	.text._Z15sort_key_kernelILj1024ELj1EtN10test_utils7greaterEEvPT1_T2_,"axG",@progbits,_Z15sort_key_kernelILj1024ELj1EtN10test_utils7greaterEEvPT1_T2_,comdat
	.protected	_Z15sort_key_kernelILj1024ELj1EtN10test_utils7greaterEEvPT1_T2_ ; -- Begin function _Z15sort_key_kernelILj1024ELj1EtN10test_utils7greaterEEvPT1_T2_
	.globl	_Z15sort_key_kernelILj1024ELj1EtN10test_utils7greaterEEvPT1_T2_
	.p2align	8
	.type	_Z15sort_key_kernelILj1024ELj1EtN10test_utils7greaterEEvPT1_T2_,@function
_Z15sort_key_kernelILj1024ELj1EtN10test_utils7greaterEEvPT1_T2_: ; @_Z15sort_key_kernelILj1024ELj1EtN10test_utils7greaterEEvPT1_T2_
; %bb.0:
	s_load_dwordx2 s[0:1], s[4:5], 0x0
	s_lshl_b32 s2, s6, 10
	s_mov_b32 s3, 0
	s_lshl_b64 s[2:3], s[2:3], 1
	v_lshlrev_b32_e32 v3, 1, v0
	s_waitcnt lgkmcnt(0)
	s_add_u32 s0, s0, s2
	s_addc_u32 s1, s1, s3
	global_load_ushort v8, v3, s[0:1]
	v_and_b32_e32 v6, 0x3fe, v0
	v_or_b32_e32 v5, 1, v0
	v_and_b32_e32 v9, 1, v0
	v_sub_u32_e32 v1, v5, v6
	v_min_i32_e32 v10, v9, v1
	v_mov_b32_e32 v2, s1
	v_add_co_u32_e32 v1, vcc, s0, v3
	v_addc_co_u32_e32 v2, vcc, 0, v2, vcc
	v_mov_b32_e32 v4, 0
	v_lshlrev_b32_e32 v7, 1, v6
	v_cmp_lt_i32_e32 vcc, 0, v10
	s_waitcnt vmcnt(0)
	s_barrier
	ds_write_b16 v3, v8
	s_waitcnt lgkmcnt(0)
	s_barrier
	s_and_saveexec_b64 s[0:1], vcc
	s_cbranch_execz .LBB7_4
; %bb.1:
	v_lshlrev_b32_e32 v4, 1, v9
	v_mov_b32_e32 v8, 1
	v_lshl_add_u32 v9, v5, 1, v4
	v_mov_b32_e32 v4, 0
	s_mov_b64 s[2:3], 0
.LBB7_2:                                ; =>This Inner Loop Header: Depth=1
	v_sub_u32_e32 v10, v8, v4
	v_lshrrev_b32_e32 v10, 1, v10
	v_add_u32_e32 v10, v10, v4
	v_not_b32_e32 v12, v10
	v_lshl_add_u32 v11, v10, 1, v7
	v_lshl_add_u32 v12, v12, 1, v9
	ds_read_u16 v11, v11
	ds_read_u16 v12, v12
	v_add_u32_e32 v13, 1, v10
	s_waitcnt lgkmcnt(0)
	v_cmp_gt_u16_e32 vcc, v12, v11
	v_cndmask_b32_e32 v8, v8, v10, vcc
	v_cndmask_b32_e32 v4, v13, v4, vcc
	v_cmp_ge_i32_e32 vcc, v4, v8
	s_or_b64 s[2:3], vcc, s[2:3]
	s_andn2_b64 exec, exec, s[2:3]
	s_cbranch_execnz .LBB7_2
; %bb.3:
	s_or_b64 exec, exec, s[2:3]
.LBB7_4:
	s_or_b64 exec, exec, s[0:1]
	v_sub_u32_e32 v8, v0, v4
	v_lshl_add_u32 v7, v4, 1, v7
	v_lshlrev_b32_e32 v9, 1, v8
	ds_read_u16 v7, v7
	ds_read_u16 v9, v9 offset:2
	v_add_u32_e32 v4, v4, v6
	v_add_u32_e32 v6, 1, v8
	v_cmp_le_i32_e64 s[0:1], v5, v4
	v_cmp_ge_i32_e32 vcc, v5, v6
	s_waitcnt lgkmcnt(0)
	v_cmp_gt_u16_e64 s[2:3], v9, v7
	s_or_b64 s[0:1], s[0:1], s[2:3]
	s_and_b64 vcc, vcc, s[0:1]
	v_cndmask_b32_e32 v4, v7, v9, vcc
	v_and_b32_e32 v7, 0x3fc, v0
	v_or_b32_e32 v6, 2, v7
	s_barrier
	ds_write_b16 v3, v4
	v_and_b32_e32 v4, 3, v0
	v_sub_u32_e32 v8, v6, v7
	v_sub_u32_e64 v5, v4, 2 clamp
	v_min_i32_e32 v9, v4, v8
	v_cmp_lt_i32_e32 vcc, v5, v9
	v_lshlrev_b32_e32 v8, 1, v7
	s_waitcnt lgkmcnt(0)
	s_barrier
	s_and_saveexec_b64 s[0:1], vcc
	s_cbranch_execz .LBB7_8
; %bb.5:
	v_lshl_add_u32 v10, v4, 1, v8
	s_mov_b64 s[2:3], 0
.LBB7_6:                                ; =>This Inner Loop Header: Depth=1
	v_sub_u32_e32 v11, v9, v5
	v_lshrrev_b32_e32 v11, 1, v11
	v_add_u32_e32 v11, v11, v5
	v_not_b32_e32 v13, v11
	v_lshl_add_u32 v12, v11, 1, v8
	v_lshl_add_u32 v13, v13, 1, v10
	ds_read_u16 v12, v12
	ds_read_u16 v13, v13 offset:4
	v_add_u32_e32 v14, 1, v11
	s_waitcnt lgkmcnt(0)
	v_cmp_gt_u16_e32 vcc, v13, v12
	v_cndmask_b32_e32 v9, v9, v11, vcc
	v_cndmask_b32_e32 v5, v14, v5, vcc
	v_cmp_ge_i32_e32 vcc, v5, v9
	s_or_b64 s[2:3], vcc, s[2:3]
	s_andn2_b64 exec, exec, s[2:3]
	s_cbranch_execnz .LBB7_6
; %bb.7:
	s_or_b64 exec, exec, s[2:3]
.LBB7_8:
	s_or_b64 exec, exec, s[0:1]
	v_add_u32_e32 v9, 4, v7
	v_add_u32_e32 v7, v7, v4
	v_sub_u32_e32 v7, v7, v5
	v_lshl_add_u32 v8, v5, 1, v8
	v_lshlrev_b32_e32 v7, 1, v7
	ds_read_u16 v8, v8
	ds_read_u16 v7, v7 offset:4
	v_add_u32_e32 v4, v6, v4
	v_sub_u32_e32 v4, v4, v5
	v_cmp_lt_i32_e64 s[0:1], 1, v5
	v_cmp_gt_i32_e32 vcc, v9, v4
	s_waitcnt lgkmcnt(0)
	v_cmp_gt_u16_e64 s[2:3], v7, v8
	s_or_b64 s[0:1], s[0:1], s[2:3]
	s_and_b64 vcc, vcc, s[0:1]
	v_cndmask_b32_e32 v4, v8, v7, vcc
	v_and_b32_e32 v7, 0x3f8, v0
	v_or_b32_e32 v6, 4, v7
	s_barrier
	ds_write_b16 v3, v4
	v_and_b32_e32 v4, 7, v0
	v_sub_u32_e32 v8, v6, v7
	v_sub_u32_e64 v5, v4, 4 clamp
	v_min_i32_e32 v9, v4, v8
	v_cmp_lt_i32_e32 vcc, v5, v9
	v_lshlrev_b32_e32 v8, 1, v7
	s_waitcnt lgkmcnt(0)
	s_barrier
	s_and_saveexec_b64 s[0:1], vcc
	s_cbranch_execz .LBB7_12
; %bb.9:
	v_lshl_add_u32 v10, v4, 1, v8
	s_mov_b64 s[2:3], 0
.LBB7_10:                               ; =>This Inner Loop Header: Depth=1
	v_sub_u32_e32 v11, v9, v5
	v_lshrrev_b32_e32 v11, 1, v11
	v_add_u32_e32 v11, v11, v5
	v_not_b32_e32 v13, v11
	v_lshl_add_u32 v12, v11, 1, v8
	v_lshl_add_u32 v13, v13, 1, v10
	ds_read_u16 v12, v12
	ds_read_u16 v13, v13 offset:8
	v_add_u32_e32 v14, 1, v11
	s_waitcnt lgkmcnt(0)
	v_cmp_gt_u16_e32 vcc, v13, v12
	v_cndmask_b32_e32 v9, v9, v11, vcc
	v_cndmask_b32_e32 v5, v14, v5, vcc
	v_cmp_ge_i32_e32 vcc, v5, v9
	s_or_b64 s[2:3], vcc, s[2:3]
	s_andn2_b64 exec, exec, s[2:3]
	s_cbranch_execnz .LBB7_10
; %bb.11:
	s_or_b64 exec, exec, s[2:3]
.LBB7_12:
	s_or_b64 exec, exec, s[0:1]
	v_add_u32_e32 v9, 8, v7
	v_add_u32_e32 v7, v7, v4
	v_sub_u32_e32 v7, v7, v5
	v_lshl_add_u32 v8, v5, 1, v8
	v_lshlrev_b32_e32 v7, 1, v7
	ds_read_u16 v8, v8
	ds_read_u16 v7, v7 offset:8
	v_add_u32_e32 v4, v6, v4
	v_sub_u32_e32 v4, v4, v5
	v_cmp_lt_i32_e64 s[0:1], 3, v5
	v_cmp_gt_i32_e32 vcc, v9, v4
	s_waitcnt lgkmcnt(0)
	v_cmp_gt_u16_e64 s[2:3], v7, v8
	s_or_b64 s[0:1], s[0:1], s[2:3]
	s_and_b64 vcc, vcc, s[0:1]
	v_cndmask_b32_e32 v4, v8, v7, vcc
	v_and_b32_e32 v7, 0x3f0, v0
	v_or_b32_e32 v6, 8, v7
	s_barrier
	ds_write_b16 v3, v4
	v_and_b32_e32 v4, 15, v0
	v_sub_u32_e32 v8, v6, v7
	v_sub_u32_e64 v5, v4, 8 clamp
	v_min_i32_e32 v9, v4, v8
	v_cmp_lt_i32_e32 vcc, v5, v9
	v_lshlrev_b32_e32 v8, 1, v7
	s_waitcnt lgkmcnt(0)
	s_barrier
	s_and_saveexec_b64 s[0:1], vcc
	s_cbranch_execz .LBB7_16
; %bb.13:
	v_lshl_add_u32 v10, v4, 1, v8
	s_mov_b64 s[2:3], 0
.LBB7_14:                               ; =>This Inner Loop Header: Depth=1
	v_sub_u32_e32 v11, v9, v5
	v_lshrrev_b32_e32 v11, 1, v11
	v_add_u32_e32 v11, v11, v5
	v_not_b32_e32 v13, v11
	v_lshl_add_u32 v12, v11, 1, v8
	v_lshl_add_u32 v13, v13, 1, v10
	ds_read_u16 v12, v12
	ds_read_u16 v13, v13 offset:16
	v_add_u32_e32 v14, 1, v11
	s_waitcnt lgkmcnt(0)
	v_cmp_gt_u16_e32 vcc, v13, v12
	v_cndmask_b32_e32 v9, v9, v11, vcc
	v_cndmask_b32_e32 v5, v14, v5, vcc
	v_cmp_ge_i32_e32 vcc, v5, v9
	s_or_b64 s[2:3], vcc, s[2:3]
	s_andn2_b64 exec, exec, s[2:3]
	s_cbranch_execnz .LBB7_14
; %bb.15:
	s_or_b64 exec, exec, s[2:3]
.LBB7_16:
	;; [unrolled: 55-line block ×5, first 2 shown]
	s_or_b64 exec, exec, s[0:1]
	v_add_u32_e32 v9, 0x80, v7
	v_add_u32_e32 v7, v7, v4
	v_sub_u32_e32 v7, v7, v5
	v_lshl_add_u32 v8, v5, 1, v8
	v_lshlrev_b32_e32 v7, 1, v7
	ds_read_u16 v8, v8
	ds_read_u16 v7, v7 offset:128
	v_add_u32_e32 v4, v6, v4
	v_sub_u32_e32 v4, v4, v5
	v_cmp_lt_i32_e64 s[0:1], 63, v5
	v_cmp_gt_i32_e32 vcc, v9, v4
	s_waitcnt lgkmcnt(0)
	v_cmp_gt_u16_e64 s[2:3], v7, v8
	s_or_b64 s[0:1], s[0:1], s[2:3]
	s_and_b64 vcc, vcc, s[0:1]
	v_and_b32_e32 v5, 0x300, v0
	v_cndmask_b32_e32 v4, v8, v7, vcc
	v_or_b32_e32 v7, 0x80, v5
	s_movk_i32 s4, 0x80
	v_and_b32_e32 v6, 0xff, v0
	v_sub_u32_e32 v8, v7, v5
	s_barrier
	ds_write_b16 v3, v4
	v_sub_u32_e64 v4, v6, s4 clamp
	v_min_i32_e32 v9, v6, v8
	v_cmp_lt_i32_e32 vcc, v4, v9
	v_lshlrev_b32_e32 v8, 1, v5
	s_waitcnt lgkmcnt(0)
	s_barrier
	s_and_saveexec_b64 s[0:1], vcc
	s_cbranch_execz .LBB7_32
; %bb.29:
	v_lshl_add_u32 v10, v6, 1, v8
	s_mov_b64 s[2:3], 0
.LBB7_30:                               ; =>This Inner Loop Header: Depth=1
	v_sub_u32_e32 v11, v9, v4
	v_lshrrev_b32_e32 v11, 1, v11
	v_add_u32_e32 v11, v11, v4
	v_not_b32_e32 v13, v11
	v_lshl_add_u32 v12, v11, 1, v8
	v_lshl_add_u32 v13, v13, 1, v10
	ds_read_u16 v12, v12
	ds_read_u16 v13, v13 offset:256
	v_add_u32_e32 v14, 1, v11
	s_waitcnt lgkmcnt(0)
	v_cmp_gt_u16_e32 vcc, v13, v12
	v_cndmask_b32_e32 v9, v9, v11, vcc
	v_cndmask_b32_e32 v4, v14, v4, vcc
	v_cmp_ge_i32_e32 vcc, v4, v9
	s_or_b64 s[2:3], vcc, s[2:3]
	s_andn2_b64 exec, exec, s[2:3]
	s_cbranch_execnz .LBB7_30
; %bb.31:
	s_or_b64 exec, exec, s[2:3]
.LBB7_32:
	s_or_b64 exec, exec, s[0:1]
	v_add_u32_e32 v9, 0x100, v5
	v_add_u32_e32 v5, v5, v6
	v_sub_u32_e32 v5, v5, v4
	v_lshl_add_u32 v8, v4, 1, v8
	v_lshlrev_b32_e32 v5, 1, v5
	v_add_u32_e32 v7, v7, v6
	ds_read_u16 v6, v8
	ds_read_u16 v5, v5 offset:256
	s_movk_i32 s0, 0x7f
	v_sub_u32_e32 v7, v7, v4
	v_cmp_lt_i32_e64 s[0:1], s0, v4
	v_cmp_gt_i32_e32 vcc, v9, v7
	s_waitcnt lgkmcnt(0)
	v_cmp_gt_u16_e64 s[2:3], v5, v6
	s_or_b64 s[0:1], s[0:1], s[2:3]
	s_and_b64 vcc, vcc, s[0:1]
	v_cndmask_b32_e32 v4, v6, v5, vcc
	v_and_b32_e32 v5, 0x200, v0
	v_or_b32_e32 v7, 0x100, v5
	s_movk_i32 s4, 0x100
	v_and_b32_e32 v6, 0x1ff, v0
	v_sub_u32_e32 v8, v7, v5
	s_barrier
	ds_write_b16 v3, v4
	v_sub_u32_e64 v4, v6, s4 clamp
	v_min_i32_e32 v9, v6, v8
	v_cmp_lt_i32_e32 vcc, v4, v9
	v_lshlrev_b32_e32 v8, 1, v5
	s_waitcnt lgkmcnt(0)
	s_barrier
	s_and_saveexec_b64 s[0:1], vcc
	s_cbranch_execz .LBB7_36
; %bb.33:
	v_lshl_add_u32 v10, v6, 1, v8
	s_mov_b64 s[2:3], 0
.LBB7_34:                               ; =>This Inner Loop Header: Depth=1
	v_sub_u32_e32 v11, v9, v4
	v_lshrrev_b32_e32 v11, 1, v11
	v_add_u32_e32 v11, v11, v4
	v_not_b32_e32 v13, v11
	v_lshl_add_u32 v12, v11, 1, v8
	v_lshl_add_u32 v13, v13, 1, v10
	ds_read_u16 v12, v12
	ds_read_u16 v13, v13 offset:512
	v_add_u32_e32 v14, 1, v11
	s_waitcnt lgkmcnt(0)
	v_cmp_gt_u16_e32 vcc, v13, v12
	v_cndmask_b32_e32 v9, v9, v11, vcc
	v_cndmask_b32_e32 v4, v14, v4, vcc
	v_cmp_ge_i32_e32 vcc, v4, v9
	s_or_b64 s[2:3], vcc, s[2:3]
	s_andn2_b64 exec, exec, s[2:3]
	s_cbranch_execnz .LBB7_34
; %bb.35:
	s_or_b64 exec, exec, s[2:3]
.LBB7_36:
	s_or_b64 exec, exec, s[0:1]
	v_add_u32_e32 v9, 0x200, v5
	v_add_u32_e32 v5, v5, v6
	v_sub_u32_e32 v5, v5, v4
	v_lshl_add_u32 v8, v4, 1, v8
	v_lshlrev_b32_e32 v5, 1, v5
	v_add_u32_e32 v7, v7, v6
	ds_read_u16 v6, v8
	ds_read_u16 v5, v5 offset:512
	s_movk_i32 s0, 0xff
	v_sub_u32_e32 v7, v7, v4
	v_cmp_lt_i32_e64 s[0:1], s0, v4
	v_cmp_gt_i32_e32 vcc, v9, v7
	s_waitcnt lgkmcnt(0)
	v_cmp_gt_u16_e64 s[2:3], v5, v6
	s_or_b64 s[0:1], s[0:1], s[2:3]
	s_and_b64 vcc, vcc, s[0:1]
	s_movk_i32 s4, 0x200
	v_cndmask_b32_e32 v4, v6, v5, vcc
	s_barrier
	ds_write_b16 v3, v4
	v_sub_u32_e64 v4, v0, s4 clamp
	v_min_u32_e32 v5, 0x200, v0
	v_cmp_lt_u32_e32 vcc, v4, v5
	s_waitcnt lgkmcnt(0)
	s_barrier
	s_and_saveexec_b64 s[0:1], vcc
	s_cbranch_execz .LBB7_40
; %bb.37:
	s_mov_b64 s[2:3], 0
.LBB7_38:                               ; =>This Inner Loop Header: Depth=1
	v_sub_u32_e32 v6, v5, v4
	v_lshrrev_b32_e32 v6, 1, v6
	v_add_u32_e32 v6, v6, v4
	v_not_b32_e32 v8, v6
	v_lshlrev_b32_e32 v7, 1, v6
	v_lshl_add_u32 v8, v8, 1, v3
	ds_read_u16 v7, v7
	ds_read_u16 v8, v8 offset:1024
	v_add_u32_e32 v9, 1, v6
	s_waitcnt lgkmcnt(0)
	v_cmp_gt_u16_e32 vcc, v8, v7
	v_cndmask_b32_e32 v5, v5, v6, vcc
	v_cndmask_b32_e32 v4, v9, v4, vcc
	v_cmp_ge_i32_e32 vcc, v4, v5
	s_or_b64 s[2:3], vcc, s[2:3]
	s_andn2_b64 exec, exec, s[2:3]
	s_cbranch_execnz .LBB7_38
; %bb.39:
	s_or_b64 exec, exec, s[2:3]
.LBB7_40:
	s_or_b64 exec, exec, s[0:1]
	v_sub_u32_e32 v0, v0, v4
	v_add_u32_e32 v3, 0x200, v0
	v_lshlrev_b32_e32 v5, 1, v4
	v_lshlrev_b32_e32 v0, 1, v0
	ds_read_u16 v5, v5
	ds_read_u16 v0, v0 offset:1024
	s_movk_i32 s0, 0x400
	v_cmp_gt_i32_e32 vcc, s0, v3
	s_movk_i32 s0, 0x1ff
	v_cmp_lt_i32_e64 s[0:1], s0, v4
	s_waitcnt lgkmcnt(0)
	v_cmp_gt_u16_e64 s[2:3], v0, v5
	s_or_b64 s[0:1], s[0:1], s[2:3]
	s_and_b64 vcc, vcc, s[0:1]
	v_cndmask_b32_e32 v0, v5, v0, vcc
	global_store_short v[1:2], v0, off
	s_endpgm
	.section	.rodata,"a",@progbits
	.p2align	6, 0x0
	.amdhsa_kernel _Z15sort_key_kernelILj1024ELj1EtN10test_utils7greaterEEvPT1_T2_
		.amdhsa_group_segment_fixed_size 2050
		.amdhsa_private_segment_fixed_size 0
		.amdhsa_kernarg_size 12
		.amdhsa_user_sgpr_count 6
		.amdhsa_user_sgpr_private_segment_buffer 1
		.amdhsa_user_sgpr_dispatch_ptr 0
		.amdhsa_user_sgpr_queue_ptr 0
		.amdhsa_user_sgpr_kernarg_segment_ptr 1
		.amdhsa_user_sgpr_dispatch_id 0
		.amdhsa_user_sgpr_flat_scratch_init 0
		.amdhsa_user_sgpr_private_segment_size 0
		.amdhsa_uses_dynamic_stack 0
		.amdhsa_system_sgpr_private_segment_wavefront_offset 0
		.amdhsa_system_sgpr_workgroup_id_x 1
		.amdhsa_system_sgpr_workgroup_id_y 0
		.amdhsa_system_sgpr_workgroup_id_z 0
		.amdhsa_system_sgpr_workgroup_info 0
		.amdhsa_system_vgpr_workitem_id 0
		.amdhsa_next_free_vgpr 29
		.amdhsa_next_free_sgpr 61
		.amdhsa_reserve_vcc 1
		.amdhsa_reserve_flat_scratch 0
		.amdhsa_float_round_mode_32 0
		.amdhsa_float_round_mode_16_64 0
		.amdhsa_float_denorm_mode_32 3
		.amdhsa_float_denorm_mode_16_64 3
		.amdhsa_dx10_clamp 1
		.amdhsa_ieee_mode 1
		.amdhsa_fp16_overflow 0
		.amdhsa_exception_fp_ieee_invalid_op 0
		.amdhsa_exception_fp_denorm_src 0
		.amdhsa_exception_fp_ieee_div_zero 0
		.amdhsa_exception_fp_ieee_overflow 0
		.amdhsa_exception_fp_ieee_underflow 0
		.amdhsa_exception_fp_ieee_inexact 0
		.amdhsa_exception_int_div_zero 0
	.end_amdhsa_kernel
	.section	.text._Z15sort_key_kernelILj1024ELj1EtN10test_utils7greaterEEvPT1_T2_,"axG",@progbits,_Z15sort_key_kernelILj1024ELj1EtN10test_utils7greaterEEvPT1_T2_,comdat
.Lfunc_end7:
	.size	_Z15sort_key_kernelILj1024ELj1EtN10test_utils7greaterEEvPT1_T2_, .Lfunc_end7-_Z15sort_key_kernelILj1024ELj1EtN10test_utils7greaterEEvPT1_T2_
                                        ; -- End function
	.set _Z15sort_key_kernelILj1024ELj1EtN10test_utils7greaterEEvPT1_T2_.num_vgpr, 15
	.set _Z15sort_key_kernelILj1024ELj1EtN10test_utils7greaterEEvPT1_T2_.num_agpr, 0
	.set _Z15sort_key_kernelILj1024ELj1EtN10test_utils7greaterEEvPT1_T2_.numbered_sgpr, 7
	.set _Z15sort_key_kernelILj1024ELj1EtN10test_utils7greaterEEvPT1_T2_.num_named_barrier, 0
	.set _Z15sort_key_kernelILj1024ELj1EtN10test_utils7greaterEEvPT1_T2_.private_seg_size, 0
	.set _Z15sort_key_kernelILj1024ELj1EtN10test_utils7greaterEEvPT1_T2_.uses_vcc, 1
	.set _Z15sort_key_kernelILj1024ELj1EtN10test_utils7greaterEEvPT1_T2_.uses_flat_scratch, 0
	.set _Z15sort_key_kernelILj1024ELj1EtN10test_utils7greaterEEvPT1_T2_.has_dyn_sized_stack, 0
	.set _Z15sort_key_kernelILj1024ELj1EtN10test_utils7greaterEEvPT1_T2_.has_recursion, 0
	.set _Z15sort_key_kernelILj1024ELj1EtN10test_utils7greaterEEvPT1_T2_.has_indirect_call, 0
	.section	.AMDGPU.csdata,"",@progbits
; Kernel info:
; codeLenInByte = 2648
; TotalNumSgprs: 11
; NumVgprs: 15
; ScratchSize: 0
; MemoryBound: 0
; FloatMode: 240
; IeeeMode: 1
; LDSByteSize: 2050 bytes/workgroup (compile time only)
; SGPRBlocks: 8
; VGPRBlocks: 7
; NumSGPRsForWavesPerEU: 65
; NumVGPRsForWavesPerEU: 29
; Occupancy: 8
; WaveLimiterHint : 0
; COMPUTE_PGM_RSRC2:SCRATCH_EN: 0
; COMPUTE_PGM_RSRC2:USER_SGPR: 6
; COMPUTE_PGM_RSRC2:TRAP_HANDLER: 0
; COMPUTE_PGM_RSRC2:TGID_X_EN: 1
; COMPUTE_PGM_RSRC2:TGID_Y_EN: 0
; COMPUTE_PGM_RSRC2:TGID_Z_EN: 0
; COMPUTE_PGM_RSRC2:TIDIG_COMP_CNT: 0
	.section	.text._Z15sort_key_kernelILj256ELj1EjN10test_utils4lessEEvPT1_T2_,"axG",@progbits,_Z15sort_key_kernelILj256ELj1EjN10test_utils4lessEEvPT1_T2_,comdat
	.protected	_Z15sort_key_kernelILj256ELj1EjN10test_utils4lessEEvPT1_T2_ ; -- Begin function _Z15sort_key_kernelILj256ELj1EjN10test_utils4lessEEvPT1_T2_
	.globl	_Z15sort_key_kernelILj256ELj1EjN10test_utils4lessEEvPT1_T2_
	.p2align	8
	.type	_Z15sort_key_kernelILj256ELj1EjN10test_utils4lessEEvPT1_T2_,@function
_Z15sort_key_kernelILj256ELj1EjN10test_utils4lessEEvPT1_T2_: ; @_Z15sort_key_kernelILj256ELj1EjN10test_utils4lessEEvPT1_T2_
; %bb.0:
	s_load_dwordx2 s[0:1], s[4:5], 0x0
	s_lshl_b32 s2, s6, 8
	s_mov_b32 s3, 0
	s_lshl_b64 s[2:3], s[2:3], 2
	v_lshlrev_b32_e32 v3, 2, v0
	s_waitcnt lgkmcnt(0)
	s_add_u32 s0, s0, s2
	s_addc_u32 s1, s1, s3
	global_load_dword v10, v3, s[0:1]
	v_and_b32_e32 v4, 0xfe, v0
	v_and_b32_e32 v6, 1, v0
	v_or_b32_e32 v5, 1, v4
	v_add_u32_e32 v1, -1, v6
	v_sub_u32_e32 v2, v5, v4
	v_cmp_lt_i32_e32 vcc, 0, v6
	v_cndmask_b32_e32 v7, 0, v1, vcc
	v_min_i32_e32 v9, v6, v2
	v_mov_b32_e32 v2, s1
	v_add_co_u32_e32 v1, vcc, s0, v3
	v_addc_co_u32_e32 v2, vcc, 0, v2, vcc
	v_lshlrev_b32_e32 v8, 2, v4
	v_cmp_lt_i32_e32 vcc, v7, v9
	s_waitcnt vmcnt(0)
	s_barrier
	ds_write_b32 v3, v10
	s_waitcnt lgkmcnt(0)
	s_barrier
	s_and_saveexec_b64 s[0:1], vcc
	s_cbranch_execz .LBB8_4
; %bb.1:
	v_lshlrev_b32_e32 v10, 2, v6
	v_lshl_add_u32 v10, v5, 2, v10
	s_mov_b64 s[2:3], 0
.LBB8_2:                                ; =>This Inner Loop Header: Depth=1
	v_sub_u32_e32 v11, v9, v7
	v_lshrrev_b32_e32 v11, 1, v11
	v_add_u32_e32 v11, v11, v7
	v_not_b32_e32 v13, v11
	v_lshl_add_u32 v12, v11, 2, v8
	v_lshl_add_u32 v13, v13, 2, v10
	ds_read_b32 v12, v12
	ds_read_b32 v13, v13
	v_add_u32_e32 v14, 1, v11
	s_waitcnt lgkmcnt(0)
	v_cmp_lt_u32_e32 vcc, v13, v12
	v_cndmask_b32_e32 v9, v9, v11, vcc
	v_cndmask_b32_e32 v7, v14, v7, vcc
	v_cmp_ge_i32_e32 vcc, v7, v9
	s_or_b64 s[2:3], vcc, s[2:3]
	s_andn2_b64 exec, exec, s[2:3]
	s_cbranch_execnz .LBB8_2
; %bb.3:
	s_or_b64 exec, exec, s[2:3]
.LBB8_4:
	s_or_b64 exec, exec, s[0:1]
	v_add_u32_e32 v6, v5, v6
	v_sub_u32_e32 v6, v6, v7
	v_lshl_add_u32 v8, v7, 2, v8
	v_lshlrev_b32_e32 v9, 2, v6
	ds_read_b32 v8, v8
	ds_read_b32 v9, v9
	v_add_u32_e32 v4, v7, v4
	v_cmp_le_i32_e64 s[0:1], v5, v4
	v_cmp_ge_i32_e32 vcc, v5, v6
	s_waitcnt lgkmcnt(0)
	v_cmp_lt_u32_e64 s[2:3], v9, v8
	s_or_b64 s[0:1], s[0:1], s[2:3]
	s_and_b64 vcc, vcc, s[0:1]
	v_cndmask_b32_e32 v4, v8, v9, vcc
	s_barrier
	ds_write_b32 v3, v4
	v_and_b32_e32 v4, 0xfc, v0
	v_or_b32_e32 v5, 2, v4
	v_add_u32_e32 v6, 4, v4
	v_and_b32_e32 v7, 3, v0
	v_sub_u32_e32 v8, v6, v5
	v_sub_u32_e32 v10, v5, v4
	;; [unrolled: 1-line block ×3, first 2 shown]
	v_cmp_ge_i32_e32 vcc, v7, v8
	v_cndmask_b32_e32 v8, 0, v11, vcc
	v_min_i32_e32 v10, v7, v10
	v_lshlrev_b32_e32 v9, 2, v4
	v_cmp_lt_i32_e32 vcc, v8, v10
	s_waitcnt lgkmcnt(0)
	s_barrier
	s_and_saveexec_b64 s[0:1], vcc
	s_cbranch_execz .LBB8_8
; %bb.5:
	v_lshlrev_b32_e32 v11, 2, v7
	v_lshl_add_u32 v11, v5, 2, v11
	s_mov_b64 s[2:3], 0
.LBB8_6:                                ; =>This Inner Loop Header: Depth=1
	v_sub_u32_e32 v12, v10, v8
	v_lshrrev_b32_e32 v12, 1, v12
	v_add_u32_e32 v12, v12, v8
	v_not_b32_e32 v14, v12
	v_lshl_add_u32 v13, v12, 2, v9
	v_lshl_add_u32 v14, v14, 2, v11
	ds_read_b32 v13, v13
	ds_read_b32 v14, v14
	v_add_u32_e32 v15, 1, v12
	s_waitcnt lgkmcnt(0)
	v_cmp_lt_u32_e32 vcc, v14, v13
	v_cndmask_b32_e32 v10, v10, v12, vcc
	v_cndmask_b32_e32 v8, v15, v8, vcc
	v_cmp_ge_i32_e32 vcc, v8, v10
	s_or_b64 s[2:3], vcc, s[2:3]
	s_andn2_b64 exec, exec, s[2:3]
	s_cbranch_execnz .LBB8_6
; %bb.7:
	s_or_b64 exec, exec, s[2:3]
.LBB8_8:
	s_or_b64 exec, exec, s[0:1]
	v_add_u32_e32 v7, v5, v7
	v_sub_u32_e32 v7, v7, v8
	v_lshl_add_u32 v9, v8, 2, v9
	v_lshlrev_b32_e32 v10, 2, v7
	ds_read_b32 v9, v9
	ds_read_b32 v10, v10
	v_add_u32_e32 v4, v8, v4
	v_cmp_le_i32_e64 s[0:1], v5, v4
	v_cmp_gt_i32_e32 vcc, v6, v7
	s_waitcnt lgkmcnt(0)
	v_cmp_lt_u32_e64 s[2:3], v10, v9
	s_or_b64 s[0:1], s[0:1], s[2:3]
	s_and_b64 vcc, vcc, s[0:1]
	v_cndmask_b32_e32 v4, v9, v10, vcc
	s_barrier
	ds_write_b32 v3, v4
	v_and_b32_e32 v4, 0xf8, v0
	v_or_b32_e32 v5, 4, v4
	v_add_u32_e32 v6, 8, v4
	v_and_b32_e32 v7, 7, v0
	v_sub_u32_e32 v8, v6, v5
	v_sub_u32_e32 v10, v5, v4
	v_sub_u32_e32 v11, v7, v8
	v_cmp_ge_i32_e32 vcc, v7, v8
	v_cndmask_b32_e32 v8, 0, v11, vcc
	v_min_i32_e32 v10, v7, v10
	v_lshlrev_b32_e32 v9, 2, v4
	v_cmp_lt_i32_e32 vcc, v8, v10
	s_waitcnt lgkmcnt(0)
	s_barrier
	s_and_saveexec_b64 s[0:1], vcc
	s_cbranch_execz .LBB8_12
; %bb.9:
	v_lshlrev_b32_e32 v11, 2, v7
	v_lshl_add_u32 v11, v5, 2, v11
	s_mov_b64 s[2:3], 0
.LBB8_10:                               ; =>This Inner Loop Header: Depth=1
	v_sub_u32_e32 v12, v10, v8
	v_lshrrev_b32_e32 v12, 1, v12
	v_add_u32_e32 v12, v12, v8
	v_not_b32_e32 v14, v12
	v_lshl_add_u32 v13, v12, 2, v9
	v_lshl_add_u32 v14, v14, 2, v11
	ds_read_b32 v13, v13
	ds_read_b32 v14, v14
	v_add_u32_e32 v15, 1, v12
	s_waitcnt lgkmcnt(0)
	v_cmp_lt_u32_e32 vcc, v14, v13
	v_cndmask_b32_e32 v10, v10, v12, vcc
	v_cndmask_b32_e32 v8, v15, v8, vcc
	v_cmp_ge_i32_e32 vcc, v8, v10
	s_or_b64 s[2:3], vcc, s[2:3]
	s_andn2_b64 exec, exec, s[2:3]
	s_cbranch_execnz .LBB8_10
; %bb.11:
	s_or_b64 exec, exec, s[2:3]
.LBB8_12:
	s_or_b64 exec, exec, s[0:1]
	v_add_u32_e32 v7, v5, v7
	v_sub_u32_e32 v7, v7, v8
	v_lshl_add_u32 v9, v8, 2, v9
	v_lshlrev_b32_e32 v10, 2, v7
	ds_read_b32 v9, v9
	ds_read_b32 v10, v10
	v_add_u32_e32 v4, v8, v4
	v_cmp_le_i32_e64 s[0:1], v5, v4
	v_cmp_gt_i32_e32 vcc, v6, v7
	s_waitcnt lgkmcnt(0)
	v_cmp_lt_u32_e64 s[2:3], v10, v9
	s_or_b64 s[0:1], s[0:1], s[2:3]
	s_and_b64 vcc, vcc, s[0:1]
	v_cndmask_b32_e32 v4, v9, v10, vcc
	s_barrier
	ds_write_b32 v3, v4
	v_and_b32_e32 v4, 0xf0, v0
	v_or_b32_e32 v5, 8, v4
	v_add_u32_e32 v6, 16, v4
	v_and_b32_e32 v7, 15, v0
	v_sub_u32_e32 v8, v6, v5
	v_sub_u32_e32 v10, v5, v4
	v_sub_u32_e32 v11, v7, v8
	v_cmp_ge_i32_e32 vcc, v7, v8
	v_cndmask_b32_e32 v8, 0, v11, vcc
	v_min_i32_e32 v10, v7, v10
	v_lshlrev_b32_e32 v9, 2, v4
	v_cmp_lt_i32_e32 vcc, v8, v10
	s_waitcnt lgkmcnt(0)
	s_barrier
	s_and_saveexec_b64 s[0:1], vcc
	s_cbranch_execz .LBB8_16
; %bb.13:
	v_lshlrev_b32_e32 v11, 2, v7
	v_lshl_add_u32 v11, v5, 2, v11
	s_mov_b64 s[2:3], 0
.LBB8_14:                               ; =>This Inner Loop Header: Depth=1
	v_sub_u32_e32 v12, v10, v8
	v_lshrrev_b32_e32 v12, 1, v12
	v_add_u32_e32 v12, v12, v8
	v_not_b32_e32 v14, v12
	v_lshl_add_u32 v13, v12, 2, v9
	v_lshl_add_u32 v14, v14, 2, v11
	ds_read_b32 v13, v13
	ds_read_b32 v14, v14
	v_add_u32_e32 v15, 1, v12
	s_waitcnt lgkmcnt(0)
	v_cmp_lt_u32_e32 vcc, v14, v13
	v_cndmask_b32_e32 v10, v10, v12, vcc
	v_cndmask_b32_e32 v8, v15, v8, vcc
	v_cmp_ge_i32_e32 vcc, v8, v10
	s_or_b64 s[2:3], vcc, s[2:3]
	s_andn2_b64 exec, exec, s[2:3]
	s_cbranch_execnz .LBB8_14
; %bb.15:
	s_or_b64 exec, exec, s[2:3]
.LBB8_16:
	;; [unrolled: 58-line block ×5, first 2 shown]
	s_or_b64 exec, exec, s[0:1]
	v_add_u32_e32 v7, v5, v7
	v_sub_u32_e32 v7, v7, v8
	v_lshl_add_u32 v9, v8, 2, v9
	v_lshlrev_b32_e32 v10, 2, v7
	ds_read_b32 v9, v9
	ds_read_b32 v10, v10
	v_add_u32_e32 v4, v8, v4
	v_cmp_le_i32_e64 s[0:1], v5, v4
	v_cmp_gt_i32_e32 vcc, v6, v7
	s_waitcnt lgkmcnt(0)
	v_cmp_lt_u32_e64 s[2:3], v10, v9
	s_or_b64 s[0:1], s[0:1], s[2:3]
	s_and_b64 vcc, vcc, s[0:1]
	v_cndmask_b32_e32 v4, v9, v10, vcc
	s_barrier
	ds_write_b32 v3, v4
	v_mov_b32_e32 v4, 0x80
	v_sub_u32_e64 v5, v0, v4 clamp
	v_min_i32_e32 v6, 0x80, v0
	v_cmp_lt_i32_e32 vcc, v5, v6
	s_waitcnt lgkmcnt(0)
	s_barrier
	s_and_saveexec_b64 s[0:1], vcc
	s_cbranch_execz .LBB8_32
; %bb.29:
	v_lshl_add_u32 v3, v4, 2, v3
	s_mov_b64 s[2:3], 0
.LBB8_30:                               ; =>This Inner Loop Header: Depth=1
	v_sub_u32_e32 v7, v6, v5
	v_lshrrev_b32_e32 v7, 1, v7
	v_add_u32_e32 v7, v7, v5
	v_not_b32_e32 v9, v7
	v_lshlrev_b32_e32 v8, 2, v7
	v_lshl_add_u32 v9, v9, 2, v3
	ds_read_b32 v8, v8
	ds_read_b32 v9, v9
	v_add_u32_e32 v10, 1, v7
	s_waitcnt lgkmcnt(0)
	v_cmp_lt_u32_e32 vcc, v9, v8
	v_cndmask_b32_e32 v6, v6, v7, vcc
	v_cndmask_b32_e32 v5, v10, v5, vcc
	v_cmp_ge_i32_e32 vcc, v5, v6
	s_or_b64 s[2:3], vcc, s[2:3]
	s_andn2_b64 exec, exec, s[2:3]
	s_cbranch_execnz .LBB8_30
; %bb.31:
	s_or_b64 exec, exec, s[2:3]
.LBB8_32:
	s_or_b64 exec, exec, s[0:1]
	v_add_u32_e32 v0, 0x80, v0
	v_sub_u32_e32 v0, v0, v5
	v_lshlrev_b32_e32 v3, 2, v5
	v_lshlrev_b32_e32 v6, 2, v0
	ds_read_b32 v3, v3
	ds_read_b32 v6, v6
	s_movk_i32 s0, 0x100
	v_cmp_gt_i32_e32 vcc, s0, v0
	v_cmp_le_i32_e64 s[0:1], v4, v5
	s_waitcnt lgkmcnt(0)
	v_cmp_lt_u32_e64 s[2:3], v6, v3
	s_or_b64 s[0:1], s[0:1], s[2:3]
	s_and_b64 vcc, vcc, s[0:1]
	v_cndmask_b32_e32 v0, v3, v6, vcc
	global_store_dword v[1:2], v0, off
	s_endpgm
	.section	.rodata,"a",@progbits
	.p2align	6, 0x0
	.amdhsa_kernel _Z15sort_key_kernelILj256ELj1EjN10test_utils4lessEEvPT1_T2_
		.amdhsa_group_segment_fixed_size 1028
		.amdhsa_private_segment_fixed_size 0
		.amdhsa_kernarg_size 12
		.amdhsa_user_sgpr_count 6
		.amdhsa_user_sgpr_private_segment_buffer 1
		.amdhsa_user_sgpr_dispatch_ptr 0
		.amdhsa_user_sgpr_queue_ptr 0
		.amdhsa_user_sgpr_kernarg_segment_ptr 1
		.amdhsa_user_sgpr_dispatch_id 0
		.amdhsa_user_sgpr_flat_scratch_init 0
		.amdhsa_user_sgpr_private_segment_size 0
		.amdhsa_uses_dynamic_stack 0
		.amdhsa_system_sgpr_private_segment_wavefront_offset 0
		.amdhsa_system_sgpr_workgroup_id_x 1
		.amdhsa_system_sgpr_workgroup_id_y 0
		.amdhsa_system_sgpr_workgroup_id_z 0
		.amdhsa_system_sgpr_workgroup_info 0
		.amdhsa_system_vgpr_workitem_id 0
		.amdhsa_next_free_vgpr 16
		.amdhsa_next_free_sgpr 7
		.amdhsa_reserve_vcc 1
		.amdhsa_reserve_flat_scratch 0
		.amdhsa_float_round_mode_32 0
		.amdhsa_float_round_mode_16_64 0
		.amdhsa_float_denorm_mode_32 3
		.amdhsa_float_denorm_mode_16_64 3
		.amdhsa_dx10_clamp 1
		.amdhsa_ieee_mode 1
		.amdhsa_fp16_overflow 0
		.amdhsa_exception_fp_ieee_invalid_op 0
		.amdhsa_exception_fp_denorm_src 0
		.amdhsa_exception_fp_ieee_div_zero 0
		.amdhsa_exception_fp_ieee_overflow 0
		.amdhsa_exception_fp_ieee_underflow 0
		.amdhsa_exception_fp_ieee_inexact 0
		.amdhsa_exception_int_div_zero 0
	.end_amdhsa_kernel
	.section	.text._Z15sort_key_kernelILj256ELj1EjN10test_utils4lessEEvPT1_T2_,"axG",@progbits,_Z15sort_key_kernelILj256ELj1EjN10test_utils4lessEEvPT1_T2_,comdat
.Lfunc_end8:
	.size	_Z15sort_key_kernelILj256ELj1EjN10test_utils4lessEEvPT1_T2_, .Lfunc_end8-_Z15sort_key_kernelILj256ELj1EjN10test_utils4lessEEvPT1_T2_
                                        ; -- End function
	.set _Z15sort_key_kernelILj256ELj1EjN10test_utils4lessEEvPT1_T2_.num_vgpr, 16
	.set _Z15sort_key_kernelILj256ELj1EjN10test_utils4lessEEvPT1_T2_.num_agpr, 0
	.set _Z15sort_key_kernelILj256ELj1EjN10test_utils4lessEEvPT1_T2_.numbered_sgpr, 7
	.set _Z15sort_key_kernelILj256ELj1EjN10test_utils4lessEEvPT1_T2_.num_named_barrier, 0
	.set _Z15sort_key_kernelILj256ELj1EjN10test_utils4lessEEvPT1_T2_.private_seg_size, 0
	.set _Z15sort_key_kernelILj256ELj1EjN10test_utils4lessEEvPT1_T2_.uses_vcc, 1
	.set _Z15sort_key_kernelILj256ELj1EjN10test_utils4lessEEvPT1_T2_.uses_flat_scratch, 0
	.set _Z15sort_key_kernelILj256ELj1EjN10test_utils4lessEEvPT1_T2_.has_dyn_sized_stack, 0
	.set _Z15sort_key_kernelILj256ELj1EjN10test_utils4lessEEvPT1_T2_.has_recursion, 0
	.set _Z15sort_key_kernelILj256ELj1EjN10test_utils4lessEEvPT1_T2_.has_indirect_call, 0
	.section	.AMDGPU.csdata,"",@progbits
; Kernel info:
; codeLenInByte = 2152
; TotalNumSgprs: 11
; NumVgprs: 16
; ScratchSize: 0
; MemoryBound: 0
; FloatMode: 240
; IeeeMode: 1
; LDSByteSize: 1028 bytes/workgroup (compile time only)
; SGPRBlocks: 1
; VGPRBlocks: 3
; NumSGPRsForWavesPerEU: 11
; NumVGPRsForWavesPerEU: 16
; Occupancy: 10
; WaveLimiterHint : 0
; COMPUTE_PGM_RSRC2:SCRATCH_EN: 0
; COMPUTE_PGM_RSRC2:USER_SGPR: 6
; COMPUTE_PGM_RSRC2:TRAP_HANDLER: 0
; COMPUTE_PGM_RSRC2:TGID_X_EN: 1
; COMPUTE_PGM_RSRC2:TGID_Y_EN: 0
; COMPUTE_PGM_RSRC2:TGID_Z_EN: 0
; COMPUTE_PGM_RSRC2:TIDIG_COMP_CNT: 0
	.section	.text._Z15sort_key_kernelILj128ELj1EiN10test_utils4lessEEvPT1_T2_,"axG",@progbits,_Z15sort_key_kernelILj128ELj1EiN10test_utils4lessEEvPT1_T2_,comdat
	.protected	_Z15sort_key_kernelILj128ELj1EiN10test_utils4lessEEvPT1_T2_ ; -- Begin function _Z15sort_key_kernelILj128ELj1EiN10test_utils4lessEEvPT1_T2_
	.globl	_Z15sort_key_kernelILj128ELj1EiN10test_utils4lessEEvPT1_T2_
	.p2align	8
	.type	_Z15sort_key_kernelILj128ELj1EiN10test_utils4lessEEvPT1_T2_,@function
_Z15sort_key_kernelILj128ELj1EiN10test_utils4lessEEvPT1_T2_: ; @_Z15sort_key_kernelILj128ELj1EiN10test_utils4lessEEvPT1_T2_
; %bb.0:
	s_load_dwordx2 s[0:1], s[4:5], 0x0
	s_lshl_b32 s2, s6, 7
	s_mov_b32 s3, 0
	s_lshl_b64 s[2:3], s[2:3], 2
	v_lshlrev_b32_e32 v3, 2, v0
	s_waitcnt lgkmcnt(0)
	s_add_u32 s0, s0, s2
	s_addc_u32 s1, s1, s3
	global_load_dword v10, v3, s[0:1]
	v_and_b32_e32 v4, 0x7e, v0
	v_and_b32_e32 v6, 1, v0
	v_or_b32_e32 v5, 1, v4
	v_add_u32_e32 v1, -1, v6
	v_sub_u32_e32 v2, v5, v4
	v_cmp_lt_i32_e32 vcc, 0, v6
	v_cndmask_b32_e32 v7, 0, v1, vcc
	v_min_i32_e32 v9, v6, v2
	v_mov_b32_e32 v2, s1
	v_add_co_u32_e32 v1, vcc, s0, v3
	v_addc_co_u32_e32 v2, vcc, 0, v2, vcc
	v_lshlrev_b32_e32 v8, 2, v4
	v_cmp_lt_i32_e32 vcc, v7, v9
	s_waitcnt vmcnt(0)
	s_barrier
	ds_write_b32 v3, v10
	s_waitcnt lgkmcnt(0)
	s_barrier
	s_and_saveexec_b64 s[0:1], vcc
	s_cbranch_execz .LBB9_4
; %bb.1:
	v_lshlrev_b32_e32 v10, 2, v6
	v_lshl_add_u32 v10, v5, 2, v10
	s_mov_b64 s[2:3], 0
.LBB9_2:                                ; =>This Inner Loop Header: Depth=1
	v_sub_u32_e32 v11, v9, v7
	v_lshrrev_b32_e32 v11, 1, v11
	v_add_u32_e32 v11, v11, v7
	v_not_b32_e32 v13, v11
	v_lshl_add_u32 v12, v11, 2, v8
	v_lshl_add_u32 v13, v13, 2, v10
	ds_read_b32 v12, v12
	ds_read_b32 v13, v13
	v_add_u32_e32 v14, 1, v11
	s_waitcnt lgkmcnt(0)
	v_cmp_lt_i32_e32 vcc, v13, v12
	v_cndmask_b32_e32 v9, v9, v11, vcc
	v_cndmask_b32_e32 v7, v14, v7, vcc
	v_cmp_ge_i32_e32 vcc, v7, v9
	s_or_b64 s[2:3], vcc, s[2:3]
	s_andn2_b64 exec, exec, s[2:3]
	s_cbranch_execnz .LBB9_2
; %bb.3:
	s_or_b64 exec, exec, s[2:3]
.LBB9_4:
	s_or_b64 exec, exec, s[0:1]
	v_add_u32_e32 v6, v5, v6
	v_sub_u32_e32 v6, v6, v7
	v_lshl_add_u32 v8, v7, 2, v8
	v_lshlrev_b32_e32 v9, 2, v6
	ds_read_b32 v8, v8
	ds_read_b32 v9, v9
	v_add_u32_e32 v4, v7, v4
	v_cmp_le_i32_e64 s[0:1], v5, v4
	v_cmp_ge_i32_e32 vcc, v5, v6
	s_waitcnt lgkmcnt(0)
	v_cmp_lt_i32_e64 s[2:3], v9, v8
	s_or_b64 s[0:1], s[0:1], s[2:3]
	s_and_b64 vcc, vcc, s[0:1]
	v_cndmask_b32_e32 v4, v8, v9, vcc
	s_barrier
	ds_write_b32 v3, v4
	v_and_b32_e32 v4, 0x7c, v0
	v_or_b32_e32 v5, 2, v4
	v_add_u32_e32 v6, 4, v4
	v_and_b32_e32 v7, 3, v0
	v_sub_u32_e32 v8, v6, v5
	v_sub_u32_e32 v10, v5, v4
	;; [unrolled: 1-line block ×3, first 2 shown]
	v_cmp_ge_i32_e32 vcc, v7, v8
	v_cndmask_b32_e32 v8, 0, v11, vcc
	v_min_i32_e32 v10, v7, v10
	v_lshlrev_b32_e32 v9, 2, v4
	v_cmp_lt_i32_e32 vcc, v8, v10
	s_waitcnt lgkmcnt(0)
	s_barrier
	s_and_saveexec_b64 s[0:1], vcc
	s_cbranch_execz .LBB9_8
; %bb.5:
	v_lshlrev_b32_e32 v11, 2, v7
	v_lshl_add_u32 v11, v5, 2, v11
	s_mov_b64 s[2:3], 0
.LBB9_6:                                ; =>This Inner Loop Header: Depth=1
	v_sub_u32_e32 v12, v10, v8
	v_lshrrev_b32_e32 v12, 1, v12
	v_add_u32_e32 v12, v12, v8
	v_not_b32_e32 v14, v12
	v_lshl_add_u32 v13, v12, 2, v9
	v_lshl_add_u32 v14, v14, 2, v11
	ds_read_b32 v13, v13
	ds_read_b32 v14, v14
	v_add_u32_e32 v15, 1, v12
	s_waitcnt lgkmcnt(0)
	v_cmp_lt_i32_e32 vcc, v14, v13
	v_cndmask_b32_e32 v10, v10, v12, vcc
	v_cndmask_b32_e32 v8, v15, v8, vcc
	v_cmp_ge_i32_e32 vcc, v8, v10
	s_or_b64 s[2:3], vcc, s[2:3]
	s_andn2_b64 exec, exec, s[2:3]
	s_cbranch_execnz .LBB9_6
; %bb.7:
	s_or_b64 exec, exec, s[2:3]
.LBB9_8:
	s_or_b64 exec, exec, s[0:1]
	v_add_u32_e32 v7, v5, v7
	v_sub_u32_e32 v7, v7, v8
	v_lshl_add_u32 v9, v8, 2, v9
	v_lshlrev_b32_e32 v10, 2, v7
	ds_read_b32 v9, v9
	ds_read_b32 v10, v10
	v_add_u32_e32 v4, v8, v4
	v_cmp_le_i32_e64 s[0:1], v5, v4
	v_cmp_gt_i32_e32 vcc, v6, v7
	s_waitcnt lgkmcnt(0)
	v_cmp_lt_i32_e64 s[2:3], v10, v9
	s_or_b64 s[0:1], s[0:1], s[2:3]
	s_and_b64 vcc, vcc, s[0:1]
	v_cndmask_b32_e32 v4, v9, v10, vcc
	s_barrier
	ds_write_b32 v3, v4
	v_and_b32_e32 v4, 0x78, v0
	v_or_b32_e32 v5, 4, v4
	v_add_u32_e32 v6, 8, v4
	v_and_b32_e32 v7, 7, v0
	v_sub_u32_e32 v8, v6, v5
	v_sub_u32_e32 v10, v5, v4
	v_sub_u32_e32 v11, v7, v8
	v_cmp_ge_i32_e32 vcc, v7, v8
	v_cndmask_b32_e32 v8, 0, v11, vcc
	v_min_i32_e32 v10, v7, v10
	v_lshlrev_b32_e32 v9, 2, v4
	v_cmp_lt_i32_e32 vcc, v8, v10
	s_waitcnt lgkmcnt(0)
	s_barrier
	s_and_saveexec_b64 s[0:1], vcc
	s_cbranch_execz .LBB9_12
; %bb.9:
	v_lshlrev_b32_e32 v11, 2, v7
	v_lshl_add_u32 v11, v5, 2, v11
	s_mov_b64 s[2:3], 0
.LBB9_10:                               ; =>This Inner Loop Header: Depth=1
	v_sub_u32_e32 v12, v10, v8
	v_lshrrev_b32_e32 v12, 1, v12
	v_add_u32_e32 v12, v12, v8
	v_not_b32_e32 v14, v12
	v_lshl_add_u32 v13, v12, 2, v9
	v_lshl_add_u32 v14, v14, 2, v11
	ds_read_b32 v13, v13
	ds_read_b32 v14, v14
	v_add_u32_e32 v15, 1, v12
	s_waitcnt lgkmcnt(0)
	v_cmp_lt_i32_e32 vcc, v14, v13
	v_cndmask_b32_e32 v10, v10, v12, vcc
	v_cndmask_b32_e32 v8, v15, v8, vcc
	v_cmp_ge_i32_e32 vcc, v8, v10
	s_or_b64 s[2:3], vcc, s[2:3]
	s_andn2_b64 exec, exec, s[2:3]
	s_cbranch_execnz .LBB9_10
; %bb.11:
	s_or_b64 exec, exec, s[2:3]
.LBB9_12:
	s_or_b64 exec, exec, s[0:1]
	v_add_u32_e32 v7, v5, v7
	v_sub_u32_e32 v7, v7, v8
	v_lshl_add_u32 v9, v8, 2, v9
	v_lshlrev_b32_e32 v10, 2, v7
	ds_read_b32 v9, v9
	ds_read_b32 v10, v10
	v_add_u32_e32 v4, v8, v4
	v_cmp_le_i32_e64 s[0:1], v5, v4
	v_cmp_gt_i32_e32 vcc, v6, v7
	s_waitcnt lgkmcnt(0)
	v_cmp_lt_i32_e64 s[2:3], v10, v9
	s_or_b64 s[0:1], s[0:1], s[2:3]
	s_and_b64 vcc, vcc, s[0:1]
	v_cndmask_b32_e32 v4, v9, v10, vcc
	s_barrier
	ds_write_b32 v3, v4
	v_and_b32_e32 v4, 0x70, v0
	v_or_b32_e32 v5, 8, v4
	v_add_u32_e32 v6, 16, v4
	v_and_b32_e32 v7, 15, v0
	v_sub_u32_e32 v8, v6, v5
	v_sub_u32_e32 v10, v5, v4
	v_sub_u32_e32 v11, v7, v8
	v_cmp_ge_i32_e32 vcc, v7, v8
	v_cndmask_b32_e32 v8, 0, v11, vcc
	v_min_i32_e32 v10, v7, v10
	v_lshlrev_b32_e32 v9, 2, v4
	v_cmp_lt_i32_e32 vcc, v8, v10
	s_waitcnt lgkmcnt(0)
	s_barrier
	s_and_saveexec_b64 s[0:1], vcc
	s_cbranch_execz .LBB9_16
; %bb.13:
	v_lshlrev_b32_e32 v11, 2, v7
	v_lshl_add_u32 v11, v5, 2, v11
	s_mov_b64 s[2:3], 0
.LBB9_14:                               ; =>This Inner Loop Header: Depth=1
	v_sub_u32_e32 v12, v10, v8
	v_lshrrev_b32_e32 v12, 1, v12
	v_add_u32_e32 v12, v12, v8
	v_not_b32_e32 v14, v12
	v_lshl_add_u32 v13, v12, 2, v9
	v_lshl_add_u32 v14, v14, 2, v11
	ds_read_b32 v13, v13
	ds_read_b32 v14, v14
	v_add_u32_e32 v15, 1, v12
	s_waitcnt lgkmcnt(0)
	v_cmp_lt_i32_e32 vcc, v14, v13
	v_cndmask_b32_e32 v10, v10, v12, vcc
	v_cndmask_b32_e32 v8, v15, v8, vcc
	v_cmp_ge_i32_e32 vcc, v8, v10
	s_or_b64 s[2:3], vcc, s[2:3]
	s_andn2_b64 exec, exec, s[2:3]
	s_cbranch_execnz .LBB9_14
; %bb.15:
	s_or_b64 exec, exec, s[2:3]
.LBB9_16:
	;; [unrolled: 58-line block ×4, first 2 shown]
	s_or_b64 exec, exec, s[0:1]
	v_add_u32_e32 v7, v5, v7
	v_sub_u32_e32 v7, v7, v8
	v_lshl_add_u32 v9, v8, 2, v9
	v_lshlrev_b32_e32 v10, 2, v7
	ds_read_b32 v9, v9
	ds_read_b32 v10, v10
	v_add_u32_e32 v4, v8, v4
	v_cmp_le_i32_e64 s[0:1], v5, v4
	v_cmp_gt_i32_e32 vcc, v6, v7
	s_waitcnt lgkmcnt(0)
	v_cmp_lt_i32_e64 s[2:3], v10, v9
	s_or_b64 s[0:1], s[0:1], s[2:3]
	s_and_b64 vcc, vcc, s[0:1]
	v_cndmask_b32_e32 v4, v9, v10, vcc
	s_barrier
	ds_write_b32 v3, v4
	v_sub_u32_e64 v4, v0, 64 clamp
	v_min_i32_e32 v5, 64, v0
	v_cmp_lt_i32_e32 vcc, v4, v5
	s_waitcnt lgkmcnt(0)
	s_barrier
	s_and_saveexec_b64 s[0:1], vcc
	s_cbranch_execz .LBB9_28
; %bb.25:
	v_lshl_add_u32 v3, 64, 2, v3
	s_mov_b64 s[2:3], 0
.LBB9_26:                               ; =>This Inner Loop Header: Depth=1
	v_sub_u32_e32 v6, v5, v4
	v_lshrrev_b32_e32 v6, 1, v6
	v_add_u32_e32 v6, v6, v4
	v_not_b32_e32 v8, v6
	v_lshlrev_b32_e32 v7, 2, v6
	v_lshl_add_u32 v8, v8, 2, v3
	ds_read_b32 v7, v7
	ds_read_b32 v8, v8
	v_add_u32_e32 v9, 1, v6
	s_waitcnt lgkmcnt(0)
	v_cmp_lt_i32_e32 vcc, v8, v7
	v_cndmask_b32_e32 v5, v5, v6, vcc
	v_cndmask_b32_e32 v4, v9, v4, vcc
	v_cmp_ge_i32_e32 vcc, v4, v5
	s_or_b64 s[2:3], vcc, s[2:3]
	s_andn2_b64 exec, exec, s[2:3]
	s_cbranch_execnz .LBB9_26
; %bb.27:
	s_or_b64 exec, exec, s[2:3]
.LBB9_28:
	s_or_b64 exec, exec, s[0:1]
	v_add_u32_e32 v0, 64, v0
	v_sub_u32_e32 v0, v0, v4
	v_lshlrev_b32_e32 v3, 2, v4
	v_lshlrev_b32_e32 v5, 2, v0
	ds_read_b32 v3, v3
	ds_read_b32 v5, v5
	s_movk_i32 s0, 0x80
	v_cmp_gt_i32_e32 vcc, s0, v0
	v_cmp_le_i32_e64 s[0:1], 64, v4
	s_waitcnt lgkmcnt(0)
	v_cmp_lt_i32_e64 s[2:3], v5, v3
	s_or_b64 s[0:1], s[0:1], s[2:3]
	s_and_b64 vcc, vcc, s[0:1]
	v_cndmask_b32_e32 v0, v3, v5, vcc
	global_store_dword v[1:2], v0, off
	s_endpgm
	.section	.rodata,"a",@progbits
	.p2align	6, 0x0
	.amdhsa_kernel _Z15sort_key_kernelILj128ELj1EiN10test_utils4lessEEvPT1_T2_
		.amdhsa_group_segment_fixed_size 516
		.amdhsa_private_segment_fixed_size 0
		.amdhsa_kernarg_size 12
		.amdhsa_user_sgpr_count 6
		.amdhsa_user_sgpr_private_segment_buffer 1
		.amdhsa_user_sgpr_dispatch_ptr 0
		.amdhsa_user_sgpr_queue_ptr 0
		.amdhsa_user_sgpr_kernarg_segment_ptr 1
		.amdhsa_user_sgpr_dispatch_id 0
		.amdhsa_user_sgpr_flat_scratch_init 0
		.amdhsa_user_sgpr_private_segment_size 0
		.amdhsa_uses_dynamic_stack 0
		.amdhsa_system_sgpr_private_segment_wavefront_offset 0
		.amdhsa_system_sgpr_workgroup_id_x 1
		.amdhsa_system_sgpr_workgroup_id_y 0
		.amdhsa_system_sgpr_workgroup_id_z 0
		.amdhsa_system_sgpr_workgroup_info 0
		.amdhsa_system_vgpr_workitem_id 0
		.amdhsa_next_free_vgpr 16
		.amdhsa_next_free_sgpr 7
		.amdhsa_reserve_vcc 1
		.amdhsa_reserve_flat_scratch 0
		.amdhsa_float_round_mode_32 0
		.amdhsa_float_round_mode_16_64 0
		.amdhsa_float_denorm_mode_32 3
		.amdhsa_float_denorm_mode_16_64 3
		.amdhsa_dx10_clamp 1
		.amdhsa_ieee_mode 1
		.amdhsa_fp16_overflow 0
		.amdhsa_exception_fp_ieee_invalid_op 0
		.amdhsa_exception_fp_denorm_src 0
		.amdhsa_exception_fp_ieee_div_zero 0
		.amdhsa_exception_fp_ieee_overflow 0
		.amdhsa_exception_fp_ieee_underflow 0
		.amdhsa_exception_fp_ieee_inexact 0
		.amdhsa_exception_int_div_zero 0
	.end_amdhsa_kernel
	.section	.text._Z15sort_key_kernelILj128ELj1EiN10test_utils4lessEEvPT1_T2_,"axG",@progbits,_Z15sort_key_kernelILj128ELj1EiN10test_utils4lessEEvPT1_T2_,comdat
.Lfunc_end9:
	.size	_Z15sort_key_kernelILj128ELj1EiN10test_utils4lessEEvPT1_T2_, .Lfunc_end9-_Z15sort_key_kernelILj128ELj1EiN10test_utils4lessEEvPT1_T2_
                                        ; -- End function
	.set _Z15sort_key_kernelILj128ELj1EiN10test_utils4lessEEvPT1_T2_.num_vgpr, 16
	.set _Z15sort_key_kernelILj128ELj1EiN10test_utils4lessEEvPT1_T2_.num_agpr, 0
	.set _Z15sort_key_kernelILj128ELj1EiN10test_utils4lessEEvPT1_T2_.numbered_sgpr, 7
	.set _Z15sort_key_kernelILj128ELj1EiN10test_utils4lessEEvPT1_T2_.num_named_barrier, 0
	.set _Z15sort_key_kernelILj128ELj1EiN10test_utils4lessEEvPT1_T2_.private_seg_size, 0
	.set _Z15sort_key_kernelILj128ELj1EiN10test_utils4lessEEvPT1_T2_.uses_vcc, 1
	.set _Z15sort_key_kernelILj128ELj1EiN10test_utils4lessEEvPT1_T2_.uses_flat_scratch, 0
	.set _Z15sort_key_kernelILj128ELj1EiN10test_utils4lessEEvPT1_T2_.has_dyn_sized_stack, 0
	.set _Z15sort_key_kernelILj128ELj1EiN10test_utils4lessEEvPT1_T2_.has_recursion, 0
	.set _Z15sort_key_kernelILj128ELj1EiN10test_utils4lessEEvPT1_T2_.has_indirect_call, 0
	.section	.AMDGPU.csdata,"",@progbits
; Kernel info:
; codeLenInByte = 1860
; TotalNumSgprs: 11
; NumVgprs: 16
; ScratchSize: 0
; MemoryBound: 0
; FloatMode: 240
; IeeeMode: 1
; LDSByteSize: 516 bytes/workgroup (compile time only)
; SGPRBlocks: 1
; VGPRBlocks: 3
; NumSGPRsForWavesPerEU: 11
; NumVGPRsForWavesPerEU: 16
; Occupancy: 10
; WaveLimiterHint : 0
; COMPUTE_PGM_RSRC2:SCRATCH_EN: 0
; COMPUTE_PGM_RSRC2:USER_SGPR: 6
; COMPUTE_PGM_RSRC2:TRAP_HANDLER: 0
; COMPUTE_PGM_RSRC2:TGID_X_EN: 1
; COMPUTE_PGM_RSRC2:TGID_Y_EN: 0
; COMPUTE_PGM_RSRC2:TGID_Z_EN: 0
; COMPUTE_PGM_RSRC2:TIDIG_COMP_CNT: 0
	.section	.text._Z15sort_key_kernelILj64ELj1EjN10test_utils4lessEEvPT1_T2_,"axG",@progbits,_Z15sort_key_kernelILj64ELj1EjN10test_utils4lessEEvPT1_T2_,comdat
	.protected	_Z15sort_key_kernelILj64ELj1EjN10test_utils4lessEEvPT1_T2_ ; -- Begin function _Z15sort_key_kernelILj64ELj1EjN10test_utils4lessEEvPT1_T2_
	.globl	_Z15sort_key_kernelILj64ELj1EjN10test_utils4lessEEvPT1_T2_
	.p2align	8
	.type	_Z15sort_key_kernelILj64ELj1EjN10test_utils4lessEEvPT1_T2_,@function
_Z15sort_key_kernelILj64ELj1EjN10test_utils4lessEEvPT1_T2_: ; @_Z15sort_key_kernelILj64ELj1EjN10test_utils4lessEEvPT1_T2_
; %bb.0:
	s_load_dwordx2 s[0:1], s[4:5], 0x0
	s_lshl_b32 s2, s6, 6
	s_mov_b32 s3, 0
	s_lshl_b64 s[2:3], s[2:3], 2
	v_lshlrev_b32_e32 v3, 2, v0
	s_waitcnt lgkmcnt(0)
	s_add_u32 s0, s0, s2
	s_addc_u32 s1, s1, s3
	global_load_dword v10, v3, s[0:1]
	v_and_b32_e32 v4, 62, v0
	v_and_b32_e32 v6, 1, v0
	v_or_b32_e32 v5, 1, v4
	v_add_u32_e32 v1, -1, v6
	v_sub_u32_e32 v2, v5, v4
	v_cmp_lt_i32_e32 vcc, 0, v6
	v_cndmask_b32_e32 v7, 0, v1, vcc
	v_min_i32_e32 v9, v6, v2
	v_mov_b32_e32 v2, s1
	v_add_co_u32_e32 v1, vcc, s0, v3
	v_addc_co_u32_e32 v2, vcc, 0, v2, vcc
	v_lshlrev_b32_e32 v8, 2, v4
	v_cmp_lt_i32_e32 vcc, v7, v9
	s_waitcnt vmcnt(0)
	; wave barrier
	ds_write_b32 v3, v10
	s_waitcnt lgkmcnt(0)
	; wave barrier
	s_and_saveexec_b64 s[0:1], vcc
	s_cbranch_execz .LBB10_4
; %bb.1:
	v_lshlrev_b32_e32 v10, 2, v6
	v_lshl_add_u32 v10, v5, 2, v10
	s_mov_b64 s[2:3], 0
.LBB10_2:                               ; =>This Inner Loop Header: Depth=1
	v_sub_u32_e32 v11, v9, v7
	v_lshrrev_b32_e32 v11, 1, v11
	v_add_u32_e32 v11, v11, v7
	v_not_b32_e32 v13, v11
	v_lshl_add_u32 v12, v11, 2, v8
	v_lshl_add_u32 v13, v13, 2, v10
	ds_read_b32 v12, v12
	ds_read_b32 v13, v13
	v_add_u32_e32 v14, 1, v11
	s_waitcnt lgkmcnt(0)
	v_cmp_lt_u32_e32 vcc, v13, v12
	v_cndmask_b32_e32 v9, v9, v11, vcc
	v_cndmask_b32_e32 v7, v14, v7, vcc
	v_cmp_ge_i32_e32 vcc, v7, v9
	s_or_b64 s[2:3], vcc, s[2:3]
	s_andn2_b64 exec, exec, s[2:3]
	s_cbranch_execnz .LBB10_2
; %bb.3:
	s_or_b64 exec, exec, s[2:3]
.LBB10_4:
	s_or_b64 exec, exec, s[0:1]
	v_add_u32_e32 v6, v5, v6
	v_sub_u32_e32 v6, v6, v7
	v_lshl_add_u32 v8, v7, 2, v8
	v_lshlrev_b32_e32 v9, 2, v6
	ds_read_b32 v8, v8
	ds_read_b32 v9, v9
	v_add_u32_e32 v4, v7, v4
	v_cmp_le_i32_e64 s[0:1], v5, v4
	v_cmp_ge_i32_e32 vcc, v5, v6
	s_waitcnt lgkmcnt(0)
	v_cmp_lt_u32_e64 s[2:3], v9, v8
	s_or_b64 s[0:1], s[0:1], s[2:3]
	s_and_b64 vcc, vcc, s[0:1]
	v_cndmask_b32_e32 v4, v8, v9, vcc
	; wave barrier
	ds_write_b32 v3, v4
	v_and_b32_e32 v4, 60, v0
	v_or_b32_e32 v5, 2, v4
	v_add_u32_e32 v6, 4, v4
	v_and_b32_e32 v7, 3, v0
	v_sub_u32_e32 v8, v6, v5
	v_sub_u32_e32 v10, v5, v4
	;; [unrolled: 1-line block ×3, first 2 shown]
	v_cmp_ge_i32_e32 vcc, v7, v8
	v_cndmask_b32_e32 v8, 0, v11, vcc
	v_min_i32_e32 v10, v7, v10
	v_lshlrev_b32_e32 v9, 2, v4
	v_cmp_lt_i32_e32 vcc, v8, v10
	s_waitcnt lgkmcnt(0)
	; wave barrier
	s_and_saveexec_b64 s[0:1], vcc
	s_cbranch_execz .LBB10_8
; %bb.5:
	v_lshlrev_b32_e32 v11, 2, v7
	v_lshl_add_u32 v11, v5, 2, v11
	s_mov_b64 s[2:3], 0
.LBB10_6:                               ; =>This Inner Loop Header: Depth=1
	v_sub_u32_e32 v12, v10, v8
	v_lshrrev_b32_e32 v12, 1, v12
	v_add_u32_e32 v12, v12, v8
	v_not_b32_e32 v14, v12
	v_lshl_add_u32 v13, v12, 2, v9
	v_lshl_add_u32 v14, v14, 2, v11
	ds_read_b32 v13, v13
	ds_read_b32 v14, v14
	v_add_u32_e32 v15, 1, v12
	s_waitcnt lgkmcnt(0)
	v_cmp_lt_u32_e32 vcc, v14, v13
	v_cndmask_b32_e32 v10, v10, v12, vcc
	v_cndmask_b32_e32 v8, v15, v8, vcc
	v_cmp_ge_i32_e32 vcc, v8, v10
	s_or_b64 s[2:3], vcc, s[2:3]
	s_andn2_b64 exec, exec, s[2:3]
	s_cbranch_execnz .LBB10_6
; %bb.7:
	s_or_b64 exec, exec, s[2:3]
.LBB10_8:
	s_or_b64 exec, exec, s[0:1]
	v_add_u32_e32 v7, v5, v7
	v_sub_u32_e32 v7, v7, v8
	v_lshl_add_u32 v9, v8, 2, v9
	v_lshlrev_b32_e32 v10, 2, v7
	ds_read_b32 v9, v9
	ds_read_b32 v10, v10
	v_add_u32_e32 v4, v8, v4
	v_cmp_le_i32_e64 s[0:1], v5, v4
	v_cmp_gt_i32_e32 vcc, v6, v7
	s_waitcnt lgkmcnt(0)
	v_cmp_lt_u32_e64 s[2:3], v10, v9
	s_or_b64 s[0:1], s[0:1], s[2:3]
	s_and_b64 vcc, vcc, s[0:1]
	v_cndmask_b32_e32 v4, v9, v10, vcc
	; wave barrier
	ds_write_b32 v3, v4
	v_and_b32_e32 v4, 56, v0
	v_or_b32_e32 v5, 4, v4
	v_add_u32_e32 v6, 8, v4
	v_and_b32_e32 v7, 7, v0
	v_sub_u32_e32 v8, v6, v5
	v_sub_u32_e32 v10, v5, v4
	v_sub_u32_e32 v11, v7, v8
	v_cmp_ge_i32_e32 vcc, v7, v8
	v_cndmask_b32_e32 v8, 0, v11, vcc
	v_min_i32_e32 v10, v7, v10
	v_lshlrev_b32_e32 v9, 2, v4
	v_cmp_lt_i32_e32 vcc, v8, v10
	s_waitcnt lgkmcnt(0)
	; wave barrier
	s_and_saveexec_b64 s[0:1], vcc
	s_cbranch_execz .LBB10_12
; %bb.9:
	v_lshlrev_b32_e32 v11, 2, v7
	v_lshl_add_u32 v11, v5, 2, v11
	s_mov_b64 s[2:3], 0
.LBB10_10:                              ; =>This Inner Loop Header: Depth=1
	v_sub_u32_e32 v12, v10, v8
	v_lshrrev_b32_e32 v12, 1, v12
	v_add_u32_e32 v12, v12, v8
	v_not_b32_e32 v14, v12
	v_lshl_add_u32 v13, v12, 2, v9
	v_lshl_add_u32 v14, v14, 2, v11
	ds_read_b32 v13, v13
	ds_read_b32 v14, v14
	v_add_u32_e32 v15, 1, v12
	s_waitcnt lgkmcnt(0)
	v_cmp_lt_u32_e32 vcc, v14, v13
	v_cndmask_b32_e32 v10, v10, v12, vcc
	v_cndmask_b32_e32 v8, v15, v8, vcc
	v_cmp_ge_i32_e32 vcc, v8, v10
	s_or_b64 s[2:3], vcc, s[2:3]
	s_andn2_b64 exec, exec, s[2:3]
	s_cbranch_execnz .LBB10_10
; %bb.11:
	s_or_b64 exec, exec, s[2:3]
.LBB10_12:
	s_or_b64 exec, exec, s[0:1]
	v_add_u32_e32 v7, v5, v7
	v_sub_u32_e32 v7, v7, v8
	v_lshl_add_u32 v9, v8, 2, v9
	v_lshlrev_b32_e32 v10, 2, v7
	ds_read_b32 v9, v9
	ds_read_b32 v10, v10
	v_add_u32_e32 v4, v8, v4
	v_cmp_le_i32_e64 s[0:1], v5, v4
	v_cmp_gt_i32_e32 vcc, v6, v7
	s_waitcnt lgkmcnt(0)
	v_cmp_lt_u32_e64 s[2:3], v10, v9
	s_or_b64 s[0:1], s[0:1], s[2:3]
	s_and_b64 vcc, vcc, s[0:1]
	v_cndmask_b32_e32 v4, v9, v10, vcc
	; wave barrier
	ds_write_b32 v3, v4
	v_and_b32_e32 v4, 48, v0
	v_or_b32_e32 v5, 8, v4
	v_add_u32_e32 v6, 16, v4
	v_and_b32_e32 v7, 15, v0
	v_sub_u32_e32 v8, v6, v5
	v_sub_u32_e32 v10, v5, v4
	v_sub_u32_e32 v11, v7, v8
	v_cmp_ge_i32_e32 vcc, v7, v8
	v_cndmask_b32_e32 v8, 0, v11, vcc
	v_min_i32_e32 v10, v7, v10
	v_lshlrev_b32_e32 v9, 2, v4
	v_cmp_lt_i32_e32 vcc, v8, v10
	s_waitcnt lgkmcnt(0)
	; wave barrier
	s_and_saveexec_b64 s[0:1], vcc
	s_cbranch_execz .LBB10_16
; %bb.13:
	v_lshlrev_b32_e32 v11, 2, v7
	v_lshl_add_u32 v11, v5, 2, v11
	s_mov_b64 s[2:3], 0
.LBB10_14:                              ; =>This Inner Loop Header: Depth=1
	v_sub_u32_e32 v12, v10, v8
	v_lshrrev_b32_e32 v12, 1, v12
	v_add_u32_e32 v12, v12, v8
	v_not_b32_e32 v14, v12
	v_lshl_add_u32 v13, v12, 2, v9
	v_lshl_add_u32 v14, v14, 2, v11
	ds_read_b32 v13, v13
	ds_read_b32 v14, v14
	v_add_u32_e32 v15, 1, v12
	s_waitcnt lgkmcnt(0)
	v_cmp_lt_u32_e32 vcc, v14, v13
	v_cndmask_b32_e32 v10, v10, v12, vcc
	v_cndmask_b32_e32 v8, v15, v8, vcc
	v_cmp_ge_i32_e32 vcc, v8, v10
	s_or_b64 s[2:3], vcc, s[2:3]
	s_andn2_b64 exec, exec, s[2:3]
	s_cbranch_execnz .LBB10_14
; %bb.15:
	s_or_b64 exec, exec, s[2:3]
.LBB10_16:
	;; [unrolled: 58-line block ×3, first 2 shown]
	s_or_b64 exec, exec, s[0:1]
	v_add_u32_e32 v7, v5, v7
	v_sub_u32_e32 v7, v7, v8
	v_lshl_add_u32 v9, v8, 2, v9
	v_lshlrev_b32_e32 v10, 2, v7
	ds_read_b32 v9, v9
	ds_read_b32 v10, v10
	v_add_u32_e32 v4, v8, v4
	v_cmp_le_i32_e64 s[0:1], v5, v4
	v_cmp_gt_i32_e32 vcc, v6, v7
	s_waitcnt lgkmcnt(0)
	v_cmp_lt_u32_e64 s[2:3], v10, v9
	s_or_b64 s[0:1], s[0:1], s[2:3]
	s_and_b64 vcc, vcc, s[0:1]
	v_cndmask_b32_e32 v4, v9, v10, vcc
	; wave barrier
	ds_write_b32 v3, v4
	v_sub_u32_e64 v4, v0, 32 clamp
	v_min_i32_e32 v5, 32, v0
	v_cmp_lt_i32_e32 vcc, v4, v5
	s_waitcnt lgkmcnt(0)
	; wave barrier
	s_and_saveexec_b64 s[0:1], vcc
	s_cbranch_execz .LBB10_24
; %bb.21:
	v_lshl_add_u32 v3, 32, 2, v3
	s_mov_b64 s[2:3], 0
.LBB10_22:                              ; =>This Inner Loop Header: Depth=1
	v_sub_u32_e32 v6, v5, v4
	v_lshrrev_b32_e32 v6, 1, v6
	v_add_u32_e32 v6, v6, v4
	v_not_b32_e32 v8, v6
	v_lshlrev_b32_e32 v7, 2, v6
	v_lshl_add_u32 v8, v8, 2, v3
	ds_read_b32 v7, v7
	ds_read_b32 v8, v8
	v_add_u32_e32 v9, 1, v6
	s_waitcnt lgkmcnt(0)
	v_cmp_lt_u32_e32 vcc, v8, v7
	v_cndmask_b32_e32 v5, v5, v6, vcc
	v_cndmask_b32_e32 v4, v9, v4, vcc
	v_cmp_ge_i32_e32 vcc, v4, v5
	s_or_b64 s[2:3], vcc, s[2:3]
	s_andn2_b64 exec, exec, s[2:3]
	s_cbranch_execnz .LBB10_22
; %bb.23:
	s_or_b64 exec, exec, s[2:3]
.LBB10_24:
	s_or_b64 exec, exec, s[0:1]
	v_add_u32_e32 v0, 32, v0
	v_sub_u32_e32 v0, v0, v4
	v_lshlrev_b32_e32 v3, 2, v4
	v_lshlrev_b32_e32 v5, 2, v0
	ds_read_b32 v3, v3
	ds_read_b32 v5, v5
	v_cmp_le_i32_e32 vcc, 32, v4
	v_cmp_gt_i32_e64 s[0:1], 64, v0
	s_waitcnt lgkmcnt(0)
	v_cmp_lt_u32_e64 s[2:3], v5, v3
	s_or_b64 s[2:3], vcc, s[2:3]
	s_and_b64 vcc, s[0:1], s[2:3]
	v_cndmask_b32_e32 v0, v3, v5, vcc
	global_store_dword v[1:2], v0, off
	s_endpgm
	.section	.rodata,"a",@progbits
	.p2align	6, 0x0
	.amdhsa_kernel _Z15sort_key_kernelILj64ELj1EjN10test_utils4lessEEvPT1_T2_
		.amdhsa_group_segment_fixed_size 260
		.amdhsa_private_segment_fixed_size 0
		.amdhsa_kernarg_size 12
		.amdhsa_user_sgpr_count 6
		.amdhsa_user_sgpr_private_segment_buffer 1
		.amdhsa_user_sgpr_dispatch_ptr 0
		.amdhsa_user_sgpr_queue_ptr 0
		.amdhsa_user_sgpr_kernarg_segment_ptr 1
		.amdhsa_user_sgpr_dispatch_id 0
		.amdhsa_user_sgpr_flat_scratch_init 0
		.amdhsa_user_sgpr_private_segment_size 0
		.amdhsa_uses_dynamic_stack 0
		.amdhsa_system_sgpr_private_segment_wavefront_offset 0
		.amdhsa_system_sgpr_workgroup_id_x 1
		.amdhsa_system_sgpr_workgroup_id_y 0
		.amdhsa_system_sgpr_workgroup_id_z 0
		.amdhsa_system_sgpr_workgroup_info 0
		.amdhsa_system_vgpr_workitem_id 0
		.amdhsa_next_free_vgpr 16
		.amdhsa_next_free_sgpr 7
		.amdhsa_reserve_vcc 1
		.amdhsa_reserve_flat_scratch 0
		.amdhsa_float_round_mode_32 0
		.amdhsa_float_round_mode_16_64 0
		.amdhsa_float_denorm_mode_32 3
		.amdhsa_float_denorm_mode_16_64 3
		.amdhsa_dx10_clamp 1
		.amdhsa_ieee_mode 1
		.amdhsa_fp16_overflow 0
		.amdhsa_exception_fp_ieee_invalid_op 0
		.amdhsa_exception_fp_denorm_src 0
		.amdhsa_exception_fp_ieee_div_zero 0
		.amdhsa_exception_fp_ieee_overflow 0
		.amdhsa_exception_fp_ieee_underflow 0
		.amdhsa_exception_fp_ieee_inexact 0
		.amdhsa_exception_int_div_zero 0
	.end_amdhsa_kernel
	.section	.text._Z15sort_key_kernelILj64ELj1EjN10test_utils4lessEEvPT1_T2_,"axG",@progbits,_Z15sort_key_kernelILj64ELj1EjN10test_utils4lessEEvPT1_T2_,comdat
.Lfunc_end10:
	.size	_Z15sort_key_kernelILj64ELj1EjN10test_utils4lessEEvPT1_T2_, .Lfunc_end10-_Z15sort_key_kernelILj64ELj1EjN10test_utils4lessEEvPT1_T2_
                                        ; -- End function
	.set _Z15sort_key_kernelILj64ELj1EjN10test_utils4lessEEvPT1_T2_.num_vgpr, 16
	.set _Z15sort_key_kernelILj64ELj1EjN10test_utils4lessEEvPT1_T2_.num_agpr, 0
	.set _Z15sort_key_kernelILj64ELj1EjN10test_utils4lessEEvPT1_T2_.numbered_sgpr, 7
	.set _Z15sort_key_kernelILj64ELj1EjN10test_utils4lessEEvPT1_T2_.num_named_barrier, 0
	.set _Z15sort_key_kernelILj64ELj1EjN10test_utils4lessEEvPT1_T2_.private_seg_size, 0
	.set _Z15sort_key_kernelILj64ELj1EjN10test_utils4lessEEvPT1_T2_.uses_vcc, 1
	.set _Z15sort_key_kernelILj64ELj1EjN10test_utils4lessEEvPT1_T2_.uses_flat_scratch, 0
	.set _Z15sort_key_kernelILj64ELj1EjN10test_utils4lessEEvPT1_T2_.has_dyn_sized_stack, 0
	.set _Z15sort_key_kernelILj64ELj1EjN10test_utils4lessEEvPT1_T2_.has_recursion, 0
	.set _Z15sort_key_kernelILj64ELj1EjN10test_utils4lessEEvPT1_T2_.has_indirect_call, 0
	.section	.AMDGPU.csdata,"",@progbits
; Kernel info:
; codeLenInByte = 1528
; TotalNumSgprs: 11
; NumVgprs: 16
; ScratchSize: 0
; MemoryBound: 0
; FloatMode: 240
; IeeeMode: 1
; LDSByteSize: 260 bytes/workgroup (compile time only)
; SGPRBlocks: 1
; VGPRBlocks: 3
; NumSGPRsForWavesPerEU: 11
; NumVGPRsForWavesPerEU: 16
; Occupancy: 10
; WaveLimiterHint : 0
; COMPUTE_PGM_RSRC2:SCRATCH_EN: 0
; COMPUTE_PGM_RSRC2:USER_SGPR: 6
; COMPUTE_PGM_RSRC2:TRAP_HANDLER: 0
; COMPUTE_PGM_RSRC2:TGID_X_EN: 1
; COMPUTE_PGM_RSRC2:TGID_Y_EN: 0
; COMPUTE_PGM_RSRC2:TGID_Z_EN: 0
; COMPUTE_PGM_RSRC2:TIDIG_COMP_CNT: 0
	.section	.text._Z21sort_key_value_kernelILj512ELj2EhiN10test_utils4lessEEvPT1_PT2_T3_,"axG",@progbits,_Z21sort_key_value_kernelILj512ELj2EhiN10test_utils4lessEEvPT1_PT2_T3_,comdat
	.protected	_Z21sort_key_value_kernelILj512ELj2EhiN10test_utils4lessEEvPT1_PT2_T3_ ; -- Begin function _Z21sort_key_value_kernelILj512ELj2EhiN10test_utils4lessEEvPT1_PT2_T3_
	.globl	_Z21sort_key_value_kernelILj512ELj2EhiN10test_utils4lessEEvPT1_PT2_T3_
	.p2align	8
	.type	_Z21sort_key_value_kernelILj512ELj2EhiN10test_utils4lessEEvPT1_PT2_T3_,@function
_Z21sort_key_value_kernelILj512ELj2EhiN10test_utils4lessEEvPT1_PT2_T3_: ; @_Z21sort_key_value_kernelILj512ELj2EhiN10test_utils4lessEEvPT1_PT2_T3_
; %bb.0:
	s_load_dwordx4 s[0:3], s[4:5], 0x0
	s_lshl_b32 s4, s6, 10
	v_lshlrev_b32_e32 v7, 1, v0
	s_mov_b32 s5, 0
	v_lshlrev_b32_e32 v3, 3, v0
	s_waitcnt lgkmcnt(0)
	s_add_u32 s6, s0, s4
	s_addc_u32 s7, s1, 0
	global_load_ushort v13, v7, s[6:7]
	s_lshl_b64 s[0:1], s[4:5], 2
	s_add_u32 s2, s2, s0
	s_addc_u32 s3, s3, s1
	global_load_dwordx2 v[5:6], v3, s[2:3]
	v_and_b32_e32 v10, 0x3fc, v7
	v_or_b32_e32 v8, 2, v10
	v_add_u32_e32 v9, 4, v10
	v_and_b32_e32 v14, 2, v7
	v_sub_u32_e32 v2, v9, v8
	v_sub_u32_e32 v1, v8, v10
	;; [unrolled: 1-line block ×3, first 2 shown]
	v_cmp_ge_i32_e32 vcc, v14, v2
	v_min_i32_e32 v12, v14, v1
	v_cndmask_b32_e32 v11, 0, v4, vcc
	v_mov_b32_e32 v2, s7
	v_add_co_u32_e32 v1, vcc, s6, v7
	v_addc_co_u32_e32 v2, vcc, 0, v2, vcc
	v_mov_b32_e32 v4, s3
	v_add_co_u32_e32 v3, vcc, s2, v3
	s_mov_b32 s4, 0xc0c0001
	v_addc_co_u32_e32 v4, vcc, 0, v4, vcc
	v_cmp_lt_i32_e64 s[0:1], v11, v12
	s_waitcnt vmcnt(0)
	s_barrier
	v_perm_b32 v15, 0, v13, s4
	v_cmp_lt_u16_sdwa vcc, v13, v13 src0_sel:BYTE_1 src1_sel:BYTE_0
	v_cndmask_b32_e32 v13, v13, v15, vcc
	ds_write_b16 v7, v13
	v_add_u32_e32 v13, v8, v14
	s_waitcnt lgkmcnt(0)
	s_barrier
	s_and_saveexec_b64 s[2:3], s[0:1]
	s_cbranch_execz .LBB11_4
; %bb.1:
	s_mov_b64 s[4:5], 0
.LBB11_2:                               ; =>This Inner Loop Header: Depth=1
	v_sub_u32_e32 v14, v12, v11
	v_lshrrev_b32_e32 v14, 1, v14
	v_add_u32_e32 v14, v14, v11
	v_add_u32_e32 v15, v10, v14
	v_xad_u32 v16, v14, -1, v13
	ds_read_u8 v15, v15
	ds_read_u8 v16, v16
	v_add_u32_e32 v17, 1, v14
	s_waitcnt lgkmcnt(0)
	v_cmp_lt_u16_e64 s[0:1], v16, v15
	v_cndmask_b32_e64 v12, v12, v14, s[0:1]
	v_cndmask_b32_e64 v11, v17, v11, s[0:1]
	v_cmp_ge_i32_e64 s[0:1], v11, v12
	s_or_b64 s[4:5], s[0:1], s[4:5]
	s_andn2_b64 exec, exec, s[4:5]
	s_cbranch_execnz .LBB11_2
; %bb.3:
	s_or_b64 exec, exec, s[4:5]
.LBB11_4:
	s_or_b64 exec, exec, s[2:3]
	v_add_u32_e32 v10, v11, v10
	v_sub_u32_e32 v11, v13, v11
	ds_read_u8 v13, v10
	ds_read_u8 v14, v11
	v_cmp_le_i32_e64 s[2:3], v8, v10
	v_cmp_gt_i32_e64 s[0:1], v9, v11
                                        ; implicit-def: $vgpr12
	s_waitcnt lgkmcnt(0)
	v_cmp_lt_u16_sdwa s[4:5], v14, v13 src0_sel:BYTE_0 src1_sel:BYTE_0
	s_or_b64 s[2:3], s[2:3], s[4:5]
	s_and_b64 s[0:1], s[0:1], s[2:3]
	s_xor_b64 s[2:3], s[0:1], -1
	s_and_saveexec_b64 s[4:5], s[2:3]
	s_xor_b64 s[2:3], exec, s[4:5]
; %bb.5:
	ds_read_u8 v12, v10 offset:1
; %bb.6:
	s_or_saveexec_b64 s[2:3], s[2:3]
	v_mov_b32_e32 v15, v14
	s_xor_b64 exec, exec, s[2:3]
	s_cbranch_execz .LBB11_8
; %bb.7:
	ds_read_u8 v15, v11 offset:1
	s_waitcnt lgkmcnt(1)
	v_mov_b32_e32 v12, v13
.LBB11_8:
	s_or_b64 exec, exec, s[2:3]
	v_add_u32_e32 v16, 1, v10
	v_cndmask_b32_e64 v13, v13, v14, s[0:1]
	v_add_u32_e32 v14, 1, v11
	v_cndmask_b32_e64 v16, v16, v10, s[0:1]
	v_cndmask_b32_e64 v14, v11, v14, s[0:1]
	;; [unrolled: 1-line block ×3, first 2 shown]
	v_cmp_ge_i32_e64 s[0:1], v16, v8
	s_waitcnt lgkmcnt(0)
	v_cmp_lt_u16_sdwa s[2:3], v15, v12 src0_sel:BYTE_0 src1_sel:BYTE_0
	v_cndmask_b32_e32 v11, v6, v5, vcc
	v_cndmask_b32_e32 v5, v5, v6, vcc
	v_cmp_lt_i32_e32 vcc, v14, v9
	s_or_b64 s[0:1], s[0:1], s[2:3]
	s_and_b64 vcc, vcc, s[0:1]
	v_cndmask_b32_e32 v8, v12, v15, vcc
	v_cndmask_b32_e32 v6, v16, v14, vcc
	v_mad_u32_u24 v9, v0, 6, v7
	v_lshlrev_b16_e32 v8, 8, v8
	s_barrier
	ds_write2_b32 v9, v5, v11 offset1:1
	v_lshlrev_b32_e32 v5, 2, v10
	v_lshlrev_b32_e32 v6, 2, v6
	v_or_b32_sdwa v8, v13, v8 dst_sel:DWORD dst_unused:UNUSED_PAD src0_sel:BYTE_0 src1_sel:DWORD
	v_and_b32_e32 v10, 0x3f8, v7
	s_waitcnt lgkmcnt(0)
	s_barrier
	ds_read_b32 v5, v5
	ds_read_b32 v6, v6
	s_waitcnt lgkmcnt(0)
	s_barrier
	ds_write_b16 v7, v8
	v_or_b32_e32 v8, 4, v10
	v_add_u32_e32 v9, 8, v10
	v_and_b32_e32 v12, 6, v7
	v_sub_u32_e32 v11, v9, v8
	v_sub_u32_e32 v13, v8, v10
	;; [unrolled: 1-line block ×3, first 2 shown]
	v_cmp_ge_i32_e32 vcc, v12, v11
	v_cndmask_b32_e32 v11, 0, v14, vcc
	v_min_i32_e32 v13, v12, v13
	v_cmp_lt_i32_e32 vcc, v11, v13
	v_add_u32_e32 v12, v8, v12
	s_waitcnt lgkmcnt(0)
	s_barrier
	s_and_saveexec_b64 s[0:1], vcc
	s_cbranch_execz .LBB11_12
; %bb.9:
	s_mov_b64 s[2:3], 0
.LBB11_10:                              ; =>This Inner Loop Header: Depth=1
	v_sub_u32_e32 v14, v13, v11
	v_lshrrev_b32_e32 v14, 1, v14
	v_add_u32_e32 v14, v14, v11
	v_add_u32_e32 v15, v10, v14
	v_xad_u32 v16, v14, -1, v12
	ds_read_u8 v15, v15
	ds_read_u8 v16, v16
	v_add_u32_e32 v17, 1, v14
	s_waitcnt lgkmcnt(0)
	v_cmp_lt_u16_e32 vcc, v16, v15
	v_cndmask_b32_e32 v13, v13, v14, vcc
	v_cndmask_b32_e32 v11, v17, v11, vcc
	v_cmp_ge_i32_e32 vcc, v11, v13
	s_or_b64 s[2:3], vcc, s[2:3]
	s_andn2_b64 exec, exec, s[2:3]
	s_cbranch_execnz .LBB11_10
; %bb.11:
	s_or_b64 exec, exec, s[2:3]
.LBB11_12:
	s_or_b64 exec, exec, s[0:1]
	v_add_u32_e32 v10, v11, v10
	v_sub_u32_e32 v11, v12, v11
	ds_read_u8 v12, v10
	ds_read_u8 v13, v11
	v_cmp_le_i32_e64 s[0:1], v8, v10
	v_cmp_gt_i32_e32 vcc, v9, v11
	v_mul_u32_u24_e32 v0, 6, v0
                                        ; implicit-def: $vgpr14
	s_waitcnt lgkmcnt(0)
	v_cmp_lt_u16_sdwa s[2:3], v13, v12 src0_sel:BYTE_0 src1_sel:BYTE_0
	s_or_b64 s[0:1], s[0:1], s[2:3]
	s_and_b64 vcc, vcc, s[0:1]
	s_xor_b64 s[0:1], vcc, -1
	s_and_saveexec_b64 s[2:3], s[0:1]
	s_xor_b64 s[0:1], exec, s[2:3]
; %bb.13:
	ds_read_u8 v14, v10 offset:1
; %bb.14:
	s_or_saveexec_b64 s[0:1], s[0:1]
	v_mov_b32_e32 v15, v13
	s_xor_b64 exec, exec, s[0:1]
	s_cbranch_execz .LBB11_16
; %bb.15:
	ds_read_u8 v15, v11 offset:1
	s_waitcnt lgkmcnt(1)
	v_mov_b32_e32 v14, v12
.LBB11_16:
	s_or_b64 exec, exec, s[0:1]
	v_add_u32_e32 v16, 1, v10
	v_cndmask_b32_e32 v12, v12, v13, vcc
	v_add_u32_e32 v13, 1, v11
	v_cndmask_b32_e32 v16, v16, v10, vcc
	v_cndmask_b32_e32 v13, v11, v13, vcc
	v_cmp_ge_i32_e64 s[0:1], v16, v8
	s_waitcnt lgkmcnt(0)
	v_cmp_lt_u16_sdwa s[2:3], v15, v14 src0_sel:BYTE_0 src1_sel:BYTE_0
	v_cndmask_b32_e32 v10, v10, v11, vcc
	v_cmp_lt_i32_e32 vcc, v13, v9
	s_or_b64 s[0:1], s[0:1], s[2:3]
	s_and_b64 vcc, vcc, s[0:1]
	v_cndmask_b32_e32 v8, v14, v15, vcc
	v_cndmask_b32_e32 v9, v16, v13, vcc
	v_add_u32_e32 v0, v7, v0
	v_lshlrev_b16_e32 v8, 8, v8
	s_barrier
	ds_write2_b32 v0, v5, v6 offset1:1
	v_lshlrev_b32_e32 v5, 2, v10
	v_lshlrev_b32_e32 v6, 2, v9
	v_or_b32_sdwa v8, v12, v8 dst_sel:DWORD dst_unused:UNUSED_PAD src0_sel:BYTE_0 src1_sel:DWORD
	v_and_b32_e32 v10, 0x3f0, v7
	s_waitcnt lgkmcnt(0)
	s_barrier
	ds_read_b32 v5, v5
	ds_read_b32 v6, v6
	s_waitcnt lgkmcnt(0)
	s_barrier
	ds_write_b16 v7, v8
	v_or_b32_e32 v8, 8, v10
	v_add_u32_e32 v9, 16, v10
	v_and_b32_e32 v12, 14, v7
	v_sub_u32_e32 v11, v9, v8
	v_sub_u32_e32 v13, v8, v10
	;; [unrolled: 1-line block ×3, first 2 shown]
	v_cmp_ge_i32_e32 vcc, v12, v11
	v_cndmask_b32_e32 v11, 0, v14, vcc
	v_min_i32_e32 v13, v12, v13
	v_cmp_lt_i32_e32 vcc, v11, v13
	v_add_u32_e32 v12, v8, v12
	s_waitcnt lgkmcnt(0)
	s_barrier
	s_and_saveexec_b64 s[0:1], vcc
	s_cbranch_execz .LBB11_20
; %bb.17:
	s_mov_b64 s[2:3], 0
.LBB11_18:                              ; =>This Inner Loop Header: Depth=1
	v_sub_u32_e32 v14, v13, v11
	v_lshrrev_b32_e32 v14, 1, v14
	v_add_u32_e32 v14, v14, v11
	v_add_u32_e32 v15, v10, v14
	v_xad_u32 v16, v14, -1, v12
	ds_read_u8 v15, v15
	ds_read_u8 v16, v16
	v_add_u32_e32 v17, 1, v14
	s_waitcnt lgkmcnt(0)
	v_cmp_lt_u16_e32 vcc, v16, v15
	v_cndmask_b32_e32 v13, v13, v14, vcc
	v_cndmask_b32_e32 v11, v17, v11, vcc
	v_cmp_ge_i32_e32 vcc, v11, v13
	s_or_b64 s[2:3], vcc, s[2:3]
	s_andn2_b64 exec, exec, s[2:3]
	s_cbranch_execnz .LBB11_18
; %bb.19:
	s_or_b64 exec, exec, s[2:3]
.LBB11_20:
	s_or_b64 exec, exec, s[0:1]
	v_add_u32_e32 v10, v11, v10
	v_sub_u32_e32 v11, v12, v11
	ds_read_u8 v12, v10
	ds_read_u8 v13, v11
	v_cmp_le_i32_e64 s[0:1], v8, v10
	v_cmp_gt_i32_e32 vcc, v9, v11
                                        ; implicit-def: $vgpr14
	s_waitcnt lgkmcnt(0)
	v_cmp_lt_u16_sdwa s[2:3], v13, v12 src0_sel:BYTE_0 src1_sel:BYTE_0
	s_or_b64 s[0:1], s[0:1], s[2:3]
	s_and_b64 vcc, vcc, s[0:1]
	s_xor_b64 s[0:1], vcc, -1
	s_and_saveexec_b64 s[2:3], s[0:1]
	s_xor_b64 s[0:1], exec, s[2:3]
; %bb.21:
	ds_read_u8 v14, v10 offset:1
; %bb.22:
	s_or_saveexec_b64 s[0:1], s[0:1]
	v_mov_b32_e32 v15, v13
	s_xor_b64 exec, exec, s[0:1]
	s_cbranch_execz .LBB11_24
; %bb.23:
	ds_read_u8 v15, v11 offset:1
	s_waitcnt lgkmcnt(1)
	v_mov_b32_e32 v14, v12
.LBB11_24:
	s_or_b64 exec, exec, s[0:1]
	v_add_u32_e32 v16, 1, v10
	v_cndmask_b32_e32 v12, v12, v13, vcc
	v_add_u32_e32 v13, 1, v11
	v_cndmask_b32_e32 v16, v16, v10, vcc
	v_cndmask_b32_e32 v13, v11, v13, vcc
	v_cmp_ge_i32_e64 s[0:1], v16, v8
	s_waitcnt lgkmcnt(0)
	v_cmp_lt_u16_sdwa s[2:3], v15, v14 src0_sel:BYTE_0 src1_sel:BYTE_0
	v_cndmask_b32_e32 v10, v10, v11, vcc
	v_cmp_lt_i32_e32 vcc, v13, v9
	s_or_b64 s[0:1], s[0:1], s[2:3]
	s_and_b64 vcc, vcc, s[0:1]
	v_cndmask_b32_e32 v8, v14, v15, vcc
	v_cndmask_b32_e32 v9, v16, v13, vcc
	v_lshlrev_b16_e32 v8, 8, v8
	s_barrier
	ds_write2_b32 v0, v5, v6 offset1:1
	v_lshlrev_b32_e32 v5, 2, v10
	v_lshlrev_b32_e32 v6, 2, v9
	v_or_b32_sdwa v8, v12, v8 dst_sel:DWORD dst_unused:UNUSED_PAD src0_sel:BYTE_0 src1_sel:DWORD
	v_and_b32_e32 v10, 0x3e0, v7
	s_waitcnt lgkmcnt(0)
	s_barrier
	ds_read_b32 v5, v5
	ds_read_b32 v6, v6
	s_waitcnt lgkmcnt(0)
	s_barrier
	ds_write_b16 v7, v8
	v_or_b32_e32 v8, 16, v10
	v_add_u32_e32 v9, 32, v10
	v_and_b32_e32 v12, 30, v7
	v_sub_u32_e32 v11, v9, v8
	v_sub_u32_e32 v13, v8, v10
	v_sub_u32_e32 v14, v12, v11
	v_cmp_ge_i32_e32 vcc, v12, v11
	v_cndmask_b32_e32 v11, 0, v14, vcc
	v_min_i32_e32 v13, v12, v13
	v_cmp_lt_i32_e32 vcc, v11, v13
	v_add_u32_e32 v12, v8, v12
	s_waitcnt lgkmcnt(0)
	s_barrier
	s_and_saveexec_b64 s[0:1], vcc
	s_cbranch_execz .LBB11_28
; %bb.25:
	s_mov_b64 s[2:3], 0
.LBB11_26:                              ; =>This Inner Loop Header: Depth=1
	v_sub_u32_e32 v14, v13, v11
	v_lshrrev_b32_e32 v14, 1, v14
	v_add_u32_e32 v14, v14, v11
	v_add_u32_e32 v15, v10, v14
	v_xad_u32 v16, v14, -1, v12
	ds_read_u8 v15, v15
	ds_read_u8 v16, v16
	v_add_u32_e32 v17, 1, v14
	s_waitcnt lgkmcnt(0)
	v_cmp_lt_u16_e32 vcc, v16, v15
	v_cndmask_b32_e32 v13, v13, v14, vcc
	v_cndmask_b32_e32 v11, v17, v11, vcc
	v_cmp_ge_i32_e32 vcc, v11, v13
	s_or_b64 s[2:3], vcc, s[2:3]
	s_andn2_b64 exec, exec, s[2:3]
	s_cbranch_execnz .LBB11_26
; %bb.27:
	s_or_b64 exec, exec, s[2:3]
.LBB11_28:
	s_or_b64 exec, exec, s[0:1]
	v_add_u32_e32 v10, v11, v10
	v_sub_u32_e32 v11, v12, v11
	ds_read_u8 v12, v10
	ds_read_u8 v13, v11
	v_cmp_le_i32_e64 s[0:1], v8, v10
	v_cmp_gt_i32_e32 vcc, v9, v11
                                        ; implicit-def: $vgpr14
	s_waitcnt lgkmcnt(0)
	v_cmp_lt_u16_sdwa s[2:3], v13, v12 src0_sel:BYTE_0 src1_sel:BYTE_0
	s_or_b64 s[0:1], s[0:1], s[2:3]
	s_and_b64 vcc, vcc, s[0:1]
	s_xor_b64 s[0:1], vcc, -1
	s_and_saveexec_b64 s[2:3], s[0:1]
	s_xor_b64 s[0:1], exec, s[2:3]
; %bb.29:
	ds_read_u8 v14, v10 offset:1
; %bb.30:
	s_or_saveexec_b64 s[0:1], s[0:1]
	v_mov_b32_e32 v15, v13
	s_xor_b64 exec, exec, s[0:1]
	s_cbranch_execz .LBB11_32
; %bb.31:
	ds_read_u8 v15, v11 offset:1
	s_waitcnt lgkmcnt(1)
	v_mov_b32_e32 v14, v12
.LBB11_32:
	s_or_b64 exec, exec, s[0:1]
	v_add_u32_e32 v16, 1, v10
	v_cndmask_b32_e32 v12, v12, v13, vcc
	v_add_u32_e32 v13, 1, v11
	v_cndmask_b32_e32 v16, v16, v10, vcc
	v_cndmask_b32_e32 v13, v11, v13, vcc
	v_cmp_ge_i32_e64 s[0:1], v16, v8
	s_waitcnt lgkmcnt(0)
	v_cmp_lt_u16_sdwa s[2:3], v15, v14 src0_sel:BYTE_0 src1_sel:BYTE_0
	v_cndmask_b32_e32 v10, v10, v11, vcc
	v_cmp_lt_i32_e32 vcc, v13, v9
	s_or_b64 s[0:1], s[0:1], s[2:3]
	s_and_b64 vcc, vcc, s[0:1]
	v_cndmask_b32_e32 v8, v14, v15, vcc
	v_cndmask_b32_e32 v9, v16, v13, vcc
	v_lshlrev_b16_e32 v8, 8, v8
	s_barrier
	ds_write2_b32 v0, v5, v6 offset1:1
	v_lshlrev_b32_e32 v5, 2, v10
	v_lshlrev_b32_e32 v6, 2, v9
	v_or_b32_sdwa v8, v12, v8 dst_sel:DWORD dst_unused:UNUSED_PAD src0_sel:BYTE_0 src1_sel:DWORD
	v_and_b32_e32 v10, 0x3c0, v7
	s_waitcnt lgkmcnt(0)
	s_barrier
	ds_read_b32 v5, v5
	ds_read_b32 v6, v6
	s_waitcnt lgkmcnt(0)
	s_barrier
	ds_write_b16 v7, v8
	v_or_b32_e32 v8, 32, v10
	v_add_u32_e32 v9, 64, v10
	v_and_b32_e32 v12, 62, v7
	v_sub_u32_e32 v11, v9, v8
	v_sub_u32_e32 v13, v8, v10
	;; [unrolled: 1-line block ×3, first 2 shown]
	v_cmp_ge_i32_e32 vcc, v12, v11
	v_cndmask_b32_e32 v11, 0, v14, vcc
	v_min_i32_e32 v13, v12, v13
	v_cmp_lt_i32_e32 vcc, v11, v13
	v_add_u32_e32 v12, v8, v12
	s_waitcnt lgkmcnt(0)
	s_barrier
	s_and_saveexec_b64 s[0:1], vcc
	s_cbranch_execz .LBB11_36
; %bb.33:
	s_mov_b64 s[2:3], 0
.LBB11_34:                              ; =>This Inner Loop Header: Depth=1
	v_sub_u32_e32 v14, v13, v11
	v_lshrrev_b32_e32 v14, 1, v14
	v_add_u32_e32 v14, v14, v11
	v_add_u32_e32 v15, v10, v14
	v_xad_u32 v16, v14, -1, v12
	ds_read_u8 v15, v15
	ds_read_u8 v16, v16
	v_add_u32_e32 v17, 1, v14
	s_waitcnt lgkmcnt(0)
	v_cmp_lt_u16_e32 vcc, v16, v15
	v_cndmask_b32_e32 v13, v13, v14, vcc
	v_cndmask_b32_e32 v11, v17, v11, vcc
	v_cmp_ge_i32_e32 vcc, v11, v13
	s_or_b64 s[2:3], vcc, s[2:3]
	s_andn2_b64 exec, exec, s[2:3]
	s_cbranch_execnz .LBB11_34
; %bb.35:
	s_or_b64 exec, exec, s[2:3]
.LBB11_36:
	s_or_b64 exec, exec, s[0:1]
	v_add_u32_e32 v10, v11, v10
	v_sub_u32_e32 v11, v12, v11
	ds_read_u8 v12, v10
	ds_read_u8 v13, v11
	v_cmp_le_i32_e64 s[0:1], v8, v10
	v_cmp_gt_i32_e32 vcc, v9, v11
                                        ; implicit-def: $vgpr14
	s_waitcnt lgkmcnt(0)
	v_cmp_lt_u16_sdwa s[2:3], v13, v12 src0_sel:BYTE_0 src1_sel:BYTE_0
	s_or_b64 s[0:1], s[0:1], s[2:3]
	s_and_b64 vcc, vcc, s[0:1]
	s_xor_b64 s[0:1], vcc, -1
	s_and_saveexec_b64 s[2:3], s[0:1]
	s_xor_b64 s[0:1], exec, s[2:3]
; %bb.37:
	ds_read_u8 v14, v10 offset:1
; %bb.38:
	s_or_saveexec_b64 s[0:1], s[0:1]
	v_mov_b32_e32 v15, v13
	s_xor_b64 exec, exec, s[0:1]
	s_cbranch_execz .LBB11_40
; %bb.39:
	ds_read_u8 v15, v11 offset:1
	s_waitcnt lgkmcnt(1)
	v_mov_b32_e32 v14, v12
.LBB11_40:
	s_or_b64 exec, exec, s[0:1]
	v_add_u32_e32 v16, 1, v10
	v_cndmask_b32_e32 v12, v12, v13, vcc
	v_add_u32_e32 v13, 1, v11
	v_cndmask_b32_e32 v16, v16, v10, vcc
	v_cndmask_b32_e32 v13, v11, v13, vcc
	v_cmp_ge_i32_e64 s[0:1], v16, v8
	s_waitcnt lgkmcnt(0)
	v_cmp_lt_u16_sdwa s[2:3], v15, v14 src0_sel:BYTE_0 src1_sel:BYTE_0
	v_cndmask_b32_e32 v10, v10, v11, vcc
	v_cmp_lt_i32_e32 vcc, v13, v9
	s_or_b64 s[0:1], s[0:1], s[2:3]
	s_and_b64 vcc, vcc, s[0:1]
	v_cndmask_b32_e32 v8, v14, v15, vcc
	v_cndmask_b32_e32 v9, v16, v13, vcc
	v_lshlrev_b16_e32 v8, 8, v8
	s_barrier
	ds_write2_b32 v0, v5, v6 offset1:1
	v_lshlrev_b32_e32 v5, 2, v10
	v_lshlrev_b32_e32 v6, 2, v9
	v_or_b32_sdwa v8, v12, v8 dst_sel:DWORD dst_unused:UNUSED_PAD src0_sel:BYTE_0 src1_sel:DWORD
	v_and_b32_e32 v10, 0x380, v7
	s_waitcnt lgkmcnt(0)
	s_barrier
	ds_read_b32 v5, v5
	ds_read_b32 v6, v6
	s_waitcnt lgkmcnt(0)
	s_barrier
	ds_write_b16 v7, v8
	v_or_b32_e32 v8, 64, v10
	v_add_u32_e32 v9, 0x80, v10
	v_and_b32_e32 v12, 0x7e, v7
	v_sub_u32_e32 v11, v9, v8
	v_sub_u32_e32 v13, v8, v10
	;; [unrolled: 1-line block ×3, first 2 shown]
	v_cmp_ge_i32_e32 vcc, v12, v11
	v_cndmask_b32_e32 v11, 0, v14, vcc
	v_min_i32_e32 v13, v12, v13
	v_cmp_lt_i32_e32 vcc, v11, v13
	v_add_u32_e32 v12, v8, v12
	s_waitcnt lgkmcnt(0)
	s_barrier
	s_and_saveexec_b64 s[0:1], vcc
	s_cbranch_execz .LBB11_44
; %bb.41:
	s_mov_b64 s[2:3], 0
.LBB11_42:                              ; =>This Inner Loop Header: Depth=1
	v_sub_u32_e32 v14, v13, v11
	v_lshrrev_b32_e32 v14, 1, v14
	v_add_u32_e32 v14, v14, v11
	v_add_u32_e32 v15, v10, v14
	v_xad_u32 v16, v14, -1, v12
	ds_read_u8 v15, v15
	ds_read_u8 v16, v16
	v_add_u32_e32 v17, 1, v14
	s_waitcnt lgkmcnt(0)
	v_cmp_lt_u16_e32 vcc, v16, v15
	v_cndmask_b32_e32 v13, v13, v14, vcc
	v_cndmask_b32_e32 v11, v17, v11, vcc
	v_cmp_ge_i32_e32 vcc, v11, v13
	s_or_b64 s[2:3], vcc, s[2:3]
	s_andn2_b64 exec, exec, s[2:3]
	s_cbranch_execnz .LBB11_42
; %bb.43:
	s_or_b64 exec, exec, s[2:3]
.LBB11_44:
	s_or_b64 exec, exec, s[0:1]
	v_add_u32_e32 v10, v11, v10
	v_sub_u32_e32 v11, v12, v11
	ds_read_u8 v12, v10
	ds_read_u8 v13, v11
	v_cmp_le_i32_e64 s[0:1], v8, v10
	v_cmp_gt_i32_e32 vcc, v9, v11
                                        ; implicit-def: $vgpr14
	s_waitcnt lgkmcnt(0)
	v_cmp_lt_u16_sdwa s[2:3], v13, v12 src0_sel:BYTE_0 src1_sel:BYTE_0
	s_or_b64 s[0:1], s[0:1], s[2:3]
	s_and_b64 vcc, vcc, s[0:1]
	s_xor_b64 s[0:1], vcc, -1
	s_and_saveexec_b64 s[2:3], s[0:1]
	s_xor_b64 s[0:1], exec, s[2:3]
; %bb.45:
	ds_read_u8 v14, v10 offset:1
; %bb.46:
	s_or_saveexec_b64 s[0:1], s[0:1]
	v_mov_b32_e32 v15, v13
	s_xor_b64 exec, exec, s[0:1]
	s_cbranch_execz .LBB11_48
; %bb.47:
	ds_read_u8 v15, v11 offset:1
	s_waitcnt lgkmcnt(1)
	v_mov_b32_e32 v14, v12
.LBB11_48:
	s_or_b64 exec, exec, s[0:1]
	v_add_u32_e32 v16, 1, v10
	v_cndmask_b32_e32 v12, v12, v13, vcc
	v_add_u32_e32 v13, 1, v11
	v_cndmask_b32_e32 v16, v16, v10, vcc
	v_cndmask_b32_e32 v13, v11, v13, vcc
	v_cmp_ge_i32_e64 s[0:1], v16, v8
	s_waitcnt lgkmcnt(0)
	v_cmp_lt_u16_sdwa s[2:3], v15, v14 src0_sel:BYTE_0 src1_sel:BYTE_0
	v_cndmask_b32_e32 v10, v10, v11, vcc
	v_cmp_lt_i32_e32 vcc, v13, v9
	s_or_b64 s[0:1], s[0:1], s[2:3]
	s_and_b64 vcc, vcc, s[0:1]
	v_cndmask_b32_e32 v8, v14, v15, vcc
	v_cndmask_b32_e32 v9, v16, v13, vcc
	v_lshlrev_b16_e32 v8, 8, v8
	s_barrier
	ds_write2_b32 v0, v5, v6 offset1:1
	v_lshlrev_b32_e32 v5, 2, v10
	v_lshlrev_b32_e32 v6, 2, v9
	v_or_b32_sdwa v8, v12, v8 dst_sel:DWORD dst_unused:UNUSED_PAD src0_sel:BYTE_0 src1_sel:DWORD
	v_and_b32_e32 v10, 0x300, v7
	s_waitcnt lgkmcnt(0)
	s_barrier
	ds_read_b32 v5, v5
	ds_read_b32 v6, v6
	s_waitcnt lgkmcnt(0)
	s_barrier
	ds_write_b16 v7, v8
	v_or_b32_e32 v8, 0x80, v10
	v_add_u32_e32 v9, 0x100, v10
	v_and_b32_e32 v12, 0xfe, v7
	v_sub_u32_e32 v11, v9, v8
	v_sub_u32_e32 v13, v8, v10
	;; [unrolled: 1-line block ×3, first 2 shown]
	v_cmp_ge_i32_e32 vcc, v12, v11
	v_cndmask_b32_e32 v11, 0, v14, vcc
	v_min_i32_e32 v13, v12, v13
	v_cmp_lt_i32_e32 vcc, v11, v13
	v_add_u32_e32 v12, v8, v12
	s_waitcnt lgkmcnt(0)
	s_barrier
	s_and_saveexec_b64 s[0:1], vcc
	s_cbranch_execz .LBB11_52
; %bb.49:
	s_mov_b64 s[2:3], 0
.LBB11_50:                              ; =>This Inner Loop Header: Depth=1
	v_sub_u32_e32 v14, v13, v11
	v_lshrrev_b32_e32 v14, 1, v14
	v_add_u32_e32 v14, v14, v11
	v_add_u32_e32 v15, v10, v14
	v_xad_u32 v16, v14, -1, v12
	ds_read_u8 v15, v15
	ds_read_u8 v16, v16
	v_add_u32_e32 v17, 1, v14
	s_waitcnt lgkmcnt(0)
	v_cmp_lt_u16_e32 vcc, v16, v15
	v_cndmask_b32_e32 v13, v13, v14, vcc
	v_cndmask_b32_e32 v11, v17, v11, vcc
	v_cmp_ge_i32_e32 vcc, v11, v13
	s_or_b64 s[2:3], vcc, s[2:3]
	s_andn2_b64 exec, exec, s[2:3]
	s_cbranch_execnz .LBB11_50
; %bb.51:
	s_or_b64 exec, exec, s[2:3]
.LBB11_52:
	s_or_b64 exec, exec, s[0:1]
	v_add_u32_e32 v10, v11, v10
	v_sub_u32_e32 v11, v12, v11
	ds_read_u8 v12, v10
	ds_read_u8 v13, v11
	v_cmp_le_i32_e64 s[0:1], v8, v10
	v_cmp_gt_i32_e32 vcc, v9, v11
                                        ; implicit-def: $vgpr14
	s_waitcnt lgkmcnt(0)
	v_cmp_lt_u16_sdwa s[2:3], v13, v12 src0_sel:BYTE_0 src1_sel:BYTE_0
	s_or_b64 s[0:1], s[0:1], s[2:3]
	s_and_b64 vcc, vcc, s[0:1]
	s_xor_b64 s[0:1], vcc, -1
	s_and_saveexec_b64 s[2:3], s[0:1]
	s_xor_b64 s[0:1], exec, s[2:3]
; %bb.53:
	ds_read_u8 v14, v10 offset:1
; %bb.54:
	s_or_saveexec_b64 s[0:1], s[0:1]
	v_mov_b32_e32 v15, v13
	s_xor_b64 exec, exec, s[0:1]
	s_cbranch_execz .LBB11_56
; %bb.55:
	ds_read_u8 v15, v11 offset:1
	s_waitcnt lgkmcnt(1)
	v_mov_b32_e32 v14, v12
.LBB11_56:
	s_or_b64 exec, exec, s[0:1]
	v_add_u32_e32 v16, 1, v10
	v_cndmask_b32_e32 v12, v12, v13, vcc
	v_add_u32_e32 v13, 1, v11
	v_cndmask_b32_e32 v16, v16, v10, vcc
	v_cndmask_b32_e32 v13, v11, v13, vcc
	v_cmp_ge_i32_e64 s[0:1], v16, v8
	s_waitcnt lgkmcnt(0)
	v_cmp_lt_u16_sdwa s[2:3], v15, v14 src0_sel:BYTE_0 src1_sel:BYTE_0
	v_cndmask_b32_e32 v10, v10, v11, vcc
	v_cmp_lt_i32_e32 vcc, v13, v9
	s_or_b64 s[0:1], s[0:1], s[2:3]
	s_and_b64 vcc, vcc, s[0:1]
	v_cndmask_b32_e32 v8, v14, v15, vcc
	v_cndmask_b32_e32 v9, v16, v13, vcc
	v_lshlrev_b16_e32 v8, 8, v8
	s_barrier
	ds_write2_b32 v0, v5, v6 offset1:1
	v_lshlrev_b32_e32 v5, 2, v10
	v_lshlrev_b32_e32 v6, 2, v9
	v_or_b32_sdwa v8, v12, v8 dst_sel:DWORD dst_unused:UNUSED_PAD src0_sel:BYTE_0 src1_sel:DWORD
	v_and_b32_e32 v10, 0x200, v7
	s_waitcnt lgkmcnt(0)
	s_barrier
	ds_read_b32 v5, v5
	ds_read_b32 v6, v6
	s_waitcnt lgkmcnt(0)
	s_barrier
	ds_write_b16 v7, v8
	v_or_b32_e32 v8, 0x100, v10
	v_add_u32_e32 v9, 0x200, v10
	v_and_b32_e32 v12, 0x1fe, v7
	v_sub_u32_e32 v11, v9, v8
	v_sub_u32_e32 v13, v8, v10
	;; [unrolled: 1-line block ×3, first 2 shown]
	v_cmp_ge_i32_e32 vcc, v12, v11
	v_cndmask_b32_e32 v11, 0, v14, vcc
	v_min_i32_e32 v13, v12, v13
	v_cmp_lt_i32_e32 vcc, v11, v13
	v_add_u32_e32 v12, v8, v12
	s_waitcnt lgkmcnt(0)
	s_barrier
	s_and_saveexec_b64 s[0:1], vcc
	s_cbranch_execz .LBB11_60
; %bb.57:
	s_mov_b64 s[2:3], 0
.LBB11_58:                              ; =>This Inner Loop Header: Depth=1
	v_sub_u32_e32 v14, v13, v11
	v_lshrrev_b32_e32 v14, 1, v14
	v_add_u32_e32 v14, v14, v11
	v_add_u32_e32 v15, v10, v14
	v_xad_u32 v16, v14, -1, v12
	ds_read_u8 v15, v15
	ds_read_u8 v16, v16
	v_add_u32_e32 v17, 1, v14
	s_waitcnt lgkmcnt(0)
	v_cmp_lt_u16_e32 vcc, v16, v15
	v_cndmask_b32_e32 v13, v13, v14, vcc
	v_cndmask_b32_e32 v11, v17, v11, vcc
	v_cmp_ge_i32_e32 vcc, v11, v13
	s_or_b64 s[2:3], vcc, s[2:3]
	s_andn2_b64 exec, exec, s[2:3]
	s_cbranch_execnz .LBB11_58
; %bb.59:
	s_or_b64 exec, exec, s[2:3]
.LBB11_60:
	s_or_b64 exec, exec, s[0:1]
	v_add_u32_e32 v10, v11, v10
	v_sub_u32_e32 v11, v12, v11
	ds_read_u8 v12, v10
	ds_read_u8 v13, v11
	v_cmp_le_i32_e64 s[0:1], v8, v10
	v_cmp_gt_i32_e32 vcc, v9, v11
                                        ; implicit-def: $vgpr14
	s_waitcnt lgkmcnt(0)
	v_cmp_lt_u16_sdwa s[2:3], v13, v12 src0_sel:BYTE_0 src1_sel:BYTE_0
	s_or_b64 s[0:1], s[0:1], s[2:3]
	s_and_b64 vcc, vcc, s[0:1]
	s_xor_b64 s[0:1], vcc, -1
	s_and_saveexec_b64 s[2:3], s[0:1]
	s_xor_b64 s[0:1], exec, s[2:3]
; %bb.61:
	ds_read_u8 v14, v10 offset:1
; %bb.62:
	s_or_saveexec_b64 s[0:1], s[0:1]
	v_mov_b32_e32 v15, v13
	s_xor_b64 exec, exec, s[0:1]
	s_cbranch_execz .LBB11_64
; %bb.63:
	ds_read_u8 v15, v11 offset:1
	s_waitcnt lgkmcnt(1)
	v_mov_b32_e32 v14, v12
.LBB11_64:
	s_or_b64 exec, exec, s[0:1]
	v_add_u32_e32 v16, 1, v10
	v_cndmask_b32_e32 v12, v12, v13, vcc
	v_add_u32_e32 v13, 1, v11
	v_cndmask_b32_e32 v16, v16, v10, vcc
	v_cndmask_b32_e32 v13, v11, v13, vcc
	v_cmp_ge_i32_e64 s[0:1], v16, v8
	s_waitcnt lgkmcnt(0)
	v_cmp_lt_u16_sdwa s[2:3], v15, v14 src0_sel:BYTE_0 src1_sel:BYTE_0
	v_cndmask_b32_e32 v10, v10, v11, vcc
	v_cmp_lt_i32_e32 vcc, v13, v9
	s_or_b64 s[0:1], s[0:1], s[2:3]
	s_and_b64 vcc, vcc, s[0:1]
	v_cndmask_b32_e32 v9, v16, v13, vcc
	v_cndmask_b32_e32 v8, v14, v15, vcc
	s_barrier
	ds_write2_b32 v0, v5, v6 offset1:1
	v_lshlrev_b32_e32 v5, 2, v10
	v_lshlrev_b32_e32 v6, 2, v9
	s_waitcnt lgkmcnt(0)
	s_barrier
	ds_read_b32 v5, v5
	ds_read_b32 v6, v6
	v_lshlrev_b16_e32 v8, 8, v8
	v_or_b32_sdwa v8, v12, v8 dst_sel:DWORD dst_unused:UNUSED_PAD src0_sel:BYTE_0 src1_sel:DWORD
	s_waitcnt lgkmcnt(0)
	s_barrier
	ds_write_b16 v7, v8
	v_and_b32_e32 v9, 0x3fe, v7
	v_mov_b32_e32 v7, 0x200
	v_sub_u32_e64 v8, v9, v7 clamp
	v_min_i32_e32 v10, 0x200, v9
	v_cmp_lt_i32_e32 vcc, v8, v10
	v_add_u32_e32 v9, 0x200, v9
	s_waitcnt lgkmcnt(0)
	s_barrier
	s_and_saveexec_b64 s[0:1], vcc
	s_cbranch_execz .LBB11_68
; %bb.65:
	s_mov_b64 s[2:3], 0
.LBB11_66:                              ; =>This Inner Loop Header: Depth=1
	v_sub_u32_e32 v11, v10, v8
	v_lshrrev_b32_e32 v11, 1, v11
	v_add_u32_e32 v11, v11, v8
	v_xad_u32 v12, v11, -1, v9
	ds_read_u8 v13, v11
	ds_read_u8 v12, v12
	v_add_u32_e32 v14, 1, v11
	s_waitcnt lgkmcnt(0)
	v_cmp_lt_u16_e32 vcc, v12, v13
	v_cndmask_b32_e32 v10, v10, v11, vcc
	v_cndmask_b32_e32 v8, v14, v8, vcc
	v_cmp_ge_i32_e32 vcc, v8, v10
	s_or_b64 s[2:3], vcc, s[2:3]
	s_andn2_b64 exec, exec, s[2:3]
	s_cbranch_execnz .LBB11_66
; %bb.67:
	s_or_b64 exec, exec, s[2:3]
.LBB11_68:
	s_or_b64 exec, exec, s[0:1]
	v_sub_u32_e32 v9, v9, v8
	ds_read_u8 v11, v8
	ds_read_u8 v10, v9
	s_movk_i32 s0, 0x3ff
	v_cmp_lt_i32_e32 vcc, s0, v9
	v_cmp_gt_i32_e64 s[0:1], v7, v8
                                        ; implicit-def: $vgpr14
                                        ; implicit-def: $vgpr12
	s_waitcnt lgkmcnt(0)
	v_cmp_ge_u16_sdwa s[2:3], v10, v11 src0_sel:BYTE_0 src1_sel:BYTE_0
	s_and_b64 s[0:1], s[0:1], s[2:3]
	s_or_b64 s[0:1], vcc, s[0:1]
	s_and_saveexec_b64 s[2:3], s[0:1]
	s_xor_b64 s[0:1], exec, s[2:3]
; %bb.69:
	ds_read_u8 v14, v8 offset:1
	v_add_u32_e32 v12, 1, v8
; %bb.70:
	s_or_saveexec_b64 s[0:1], s[0:1]
	v_mov_b32_e32 v13, v11
	v_mov_b32_e32 v15, v8
	s_xor_b64 exec, exec, s[0:1]
	s_cbranch_execz .LBB11_72
; %bb.71:
	ds_read_u8 v16, v9 offset:1
	s_waitcnt lgkmcnt(1)
	v_add_u32_e32 v14, 1, v9
	v_mov_b32_e32 v13, v10
	v_mov_b32_e32 v15, v9
	;; [unrolled: 1-line block ×5, first 2 shown]
	s_waitcnt lgkmcnt(0)
	v_mov_b32_e32 v10, v16
.LBB11_72:
	s_or_b64 exec, exec, s[0:1]
	s_movk_i32 s0, 0x400
	v_cmp_gt_i32_e32 vcc, s0, v9
	v_cmp_ge_i32_e64 s[0:1], v12, v7
	s_waitcnt lgkmcnt(0)
	v_cmp_lt_u16_sdwa s[2:3], v10, v14 src0_sel:BYTE_0 src1_sel:BYTE_0
	s_or_b64 s[0:1], s[0:1], s[2:3]
	s_and_b64 vcc, vcc, s[0:1]
	v_cndmask_b32_e32 v8, v12, v9, vcc
	s_barrier
	ds_write2_b32 v0, v5, v6 offset1:1
	v_lshlrev_b32_e32 v0, 2, v15
	v_lshlrev_b32_e32 v6, 2, v8
	s_waitcnt lgkmcnt(0)
	s_barrier
	ds_read_b32 v5, v0
	ds_read_b32 v6, v6
	v_cndmask_b32_e32 v7, v14, v10, vcc
	v_lshlrev_b16_e32 v0, 8, v7
	v_or_b32_sdwa v0, v13, v0 dst_sel:DWORD dst_unused:UNUSED_PAD src0_sel:BYTE_0 src1_sel:DWORD
	global_store_short v[1:2], v0, off
	s_waitcnt lgkmcnt(0)
	global_store_dwordx2 v[3:4], v[5:6], off
	s_endpgm
	.section	.rodata,"a",@progbits
	.p2align	6, 0x0
	.amdhsa_kernel _Z21sort_key_value_kernelILj512ELj2EhiN10test_utils4lessEEvPT1_PT2_T3_
		.amdhsa_group_segment_fixed_size 4100
		.amdhsa_private_segment_fixed_size 0
		.amdhsa_kernarg_size 20
		.amdhsa_user_sgpr_count 6
		.amdhsa_user_sgpr_private_segment_buffer 1
		.amdhsa_user_sgpr_dispatch_ptr 0
		.amdhsa_user_sgpr_queue_ptr 0
		.amdhsa_user_sgpr_kernarg_segment_ptr 1
		.amdhsa_user_sgpr_dispatch_id 0
		.amdhsa_user_sgpr_flat_scratch_init 0
		.amdhsa_user_sgpr_private_segment_size 0
		.amdhsa_uses_dynamic_stack 0
		.amdhsa_system_sgpr_private_segment_wavefront_offset 0
		.amdhsa_system_sgpr_workgroup_id_x 1
		.amdhsa_system_sgpr_workgroup_id_y 0
		.amdhsa_system_sgpr_workgroup_id_z 0
		.amdhsa_system_sgpr_workgroup_info 0
		.amdhsa_system_vgpr_workitem_id 0
		.amdhsa_next_free_vgpr 18
		.amdhsa_next_free_sgpr 8
		.amdhsa_reserve_vcc 1
		.amdhsa_reserve_flat_scratch 0
		.amdhsa_float_round_mode_32 0
		.amdhsa_float_round_mode_16_64 0
		.amdhsa_float_denorm_mode_32 3
		.amdhsa_float_denorm_mode_16_64 3
		.amdhsa_dx10_clamp 1
		.amdhsa_ieee_mode 1
		.amdhsa_fp16_overflow 0
		.amdhsa_exception_fp_ieee_invalid_op 0
		.amdhsa_exception_fp_denorm_src 0
		.amdhsa_exception_fp_ieee_div_zero 0
		.amdhsa_exception_fp_ieee_overflow 0
		.amdhsa_exception_fp_ieee_underflow 0
		.amdhsa_exception_fp_ieee_inexact 0
		.amdhsa_exception_int_div_zero 0
	.end_amdhsa_kernel
	.section	.text._Z21sort_key_value_kernelILj512ELj2EhiN10test_utils4lessEEvPT1_PT2_T3_,"axG",@progbits,_Z21sort_key_value_kernelILj512ELj2EhiN10test_utils4lessEEvPT1_PT2_T3_,comdat
.Lfunc_end11:
	.size	_Z21sort_key_value_kernelILj512ELj2EhiN10test_utils4lessEEvPT1_PT2_T3_, .Lfunc_end11-_Z21sort_key_value_kernelILj512ELj2EhiN10test_utils4lessEEvPT1_PT2_T3_
                                        ; -- End function
	.set _Z21sort_key_value_kernelILj512ELj2EhiN10test_utils4lessEEvPT1_PT2_T3_.num_vgpr, 18
	.set _Z21sort_key_value_kernelILj512ELj2EhiN10test_utils4lessEEvPT1_PT2_T3_.num_agpr, 0
	.set _Z21sort_key_value_kernelILj512ELj2EhiN10test_utils4lessEEvPT1_PT2_T3_.numbered_sgpr, 8
	.set _Z21sort_key_value_kernelILj512ELj2EhiN10test_utils4lessEEvPT1_PT2_T3_.num_named_barrier, 0
	.set _Z21sort_key_value_kernelILj512ELj2EhiN10test_utils4lessEEvPT1_PT2_T3_.private_seg_size, 0
	.set _Z21sort_key_value_kernelILj512ELj2EhiN10test_utils4lessEEvPT1_PT2_T3_.uses_vcc, 1
	.set _Z21sort_key_value_kernelILj512ELj2EhiN10test_utils4lessEEvPT1_PT2_T3_.uses_flat_scratch, 0
	.set _Z21sort_key_value_kernelILj512ELj2EhiN10test_utils4lessEEvPT1_PT2_T3_.has_dyn_sized_stack, 0
	.set _Z21sort_key_value_kernelILj512ELj2EhiN10test_utils4lessEEvPT1_PT2_T3_.has_recursion, 0
	.set _Z21sort_key_value_kernelILj512ELj2EhiN10test_utils4lessEEvPT1_PT2_T3_.has_indirect_call, 0
	.section	.AMDGPU.csdata,"",@progbits
; Kernel info:
; codeLenInByte = 3872
; TotalNumSgprs: 12
; NumVgprs: 18
; ScratchSize: 0
; MemoryBound: 0
; FloatMode: 240
; IeeeMode: 1
; LDSByteSize: 4100 bytes/workgroup (compile time only)
; SGPRBlocks: 1
; VGPRBlocks: 4
; NumSGPRsForWavesPerEU: 12
; NumVGPRsForWavesPerEU: 18
; Occupancy: 10
; WaveLimiterHint : 0
; COMPUTE_PGM_RSRC2:SCRATCH_EN: 0
; COMPUTE_PGM_RSRC2:USER_SGPR: 6
; COMPUTE_PGM_RSRC2:TRAP_HANDLER: 0
; COMPUTE_PGM_RSRC2:TGID_X_EN: 1
; COMPUTE_PGM_RSRC2:TGID_Y_EN: 0
; COMPUTE_PGM_RSRC2:TGID_Z_EN: 0
; COMPUTE_PGM_RSRC2:TIDIG_COMP_CNT: 0
	.section	.text._Z21sort_key_value_kernelILj64ELj1EycN10test_utils4lessEEvPT1_PT2_T3_,"axG",@progbits,_Z21sort_key_value_kernelILj64ELj1EycN10test_utils4lessEEvPT1_PT2_T3_,comdat
	.protected	_Z21sort_key_value_kernelILj64ELj1EycN10test_utils4lessEEvPT1_PT2_T3_ ; -- Begin function _Z21sort_key_value_kernelILj64ELj1EycN10test_utils4lessEEvPT1_PT2_T3_
	.globl	_Z21sort_key_value_kernelILj64ELj1EycN10test_utils4lessEEvPT1_PT2_T3_
	.p2align	8
	.type	_Z21sort_key_value_kernelILj64ELj1EycN10test_utils4lessEEvPT1_PT2_T3_,@function
_Z21sort_key_value_kernelILj64ELj1EycN10test_utils4lessEEvPT1_PT2_T3_: ; @_Z21sort_key_value_kernelILj64ELj1EycN10test_utils4lessEEvPT1_PT2_T3_
; %bb.0:
	s_load_dwordx4 s[0:3], s[4:5], 0x0
	s_lshl_b32 s4, s6, 6
	s_mov_b32 s5, 0
	s_lshl_b64 s[6:7], s[4:5], 3
	v_lshlrev_b32_e32 v5, 3, v0
	s_waitcnt lgkmcnt(0)
	s_add_u32 s0, s0, s6
	s_addc_u32 s1, s1, s7
	global_load_dwordx2 v[12:13], v5, s[0:1]
	s_add_u32 s2, s2, s4
	s_addc_u32 s3, s3, 0
	global_load_ubyte v6, v0, s[2:3]
	v_and_b32_e32 v9, 1, v0
	v_add_u32_e32 v1, -1, v9
	v_cmp_lt_i32_e32 vcc, 0, v9
	v_and_b32_e32 v8, 62, v0
	v_cndmask_b32_e32 v10, 0, v1, vcc
	v_mov_b32_e32 v2, s1
	v_add_co_u32_e32 v1, vcc, s0, v5
	v_or_b32_e32 v7, 1, v8
	v_addc_co_u32_e32 v2, vcc, 0, v2, vcc
	v_sub_u32_e32 v14, v7, v8
	v_mov_b32_e32 v4, s3
	v_add_co_u32_e32 v3, vcc, s2, v0
	; wave barrier
	v_addc_co_u32_e32 v4, vcc, 0, v4, vcc
	v_lshlrev_b32_e32 v11, 3, v8
	s_waitcnt vmcnt(1)
	ds_write_b64 v5, v[12:13]
	v_min_i32_e32 v12, v9, v14
	v_cmp_lt_i32_e32 vcc, v10, v12
	s_waitcnt lgkmcnt(0)
	; wave barrier
	s_and_saveexec_b64 s[0:1], vcc
	s_cbranch_execz .LBB12_4
; %bb.1:
	v_lshlrev_b32_e32 v13, 3, v9
	v_lshl_add_u32 v13, v7, 3, v13
	s_mov_b64 s[2:3], 0
.LBB12_2:                               ; =>This Inner Loop Header: Depth=1
	v_sub_u32_e32 v14, v12, v10
	v_lshrrev_b32_e32 v14, 1, v14
	v_add_u32_e32 v18, v14, v10
	v_not_b32_e32 v15, v18
	v_lshl_add_u32 v14, v18, 3, v11
	v_lshl_add_u32 v16, v15, 3, v13
	ds_read_b64 v[14:15], v14
	ds_read_b64 v[16:17], v16
	v_add_u32_e32 v19, 1, v18
	s_waitcnt lgkmcnt(0)
	v_cmp_lt_u64_e32 vcc, v[16:17], v[14:15]
	v_cndmask_b32_e32 v12, v12, v18, vcc
	v_cndmask_b32_e32 v10, v19, v10, vcc
	v_cmp_ge_i32_e32 vcc, v10, v12
	s_or_b64 s[2:3], vcc, s[2:3]
	s_andn2_b64 exec, exec, s[2:3]
	s_cbranch_execnz .LBB12_2
; %bb.3:
	s_or_b64 exec, exec, s[2:3]
.LBB12_4:
	s_or_b64 exec, exec, s[0:1]
	v_add_u32_e32 v9, v7, v9
	v_sub_u32_e32 v9, v9, v10
	v_lshl_add_u32 v11, v10, 3, v11
	v_lshlrev_b32_e32 v13, 3, v9
	ds_read_b64 v[11:12], v11
	ds_read_b64 v[13:14], v13
	v_add_u32_e32 v10, v10, v8
	v_cmp_le_i32_e32 vcc, v7, v10
	v_cmp_ge_i32_e64 s[2:3], v7, v9
	s_waitcnt lgkmcnt(0)
	v_cmp_lt_u64_e64 s[0:1], v[13:14], v[11:12]
	; wave barrier
	s_or_b64 s[0:1], vcc, s[0:1]
	s_and_b64 vcc, s[2:3], s[0:1]
	v_cndmask_b32_e32 v8, v12, v14, vcc
	v_cndmask_b32_e32 v7, v11, v13, vcc
	;; [unrolled: 1-line block ×3, first 2 shown]
	s_waitcnt vmcnt(0)
	ds_write_b8 v0, v6
	s_waitcnt lgkmcnt(0)
	; wave barrier
	ds_read_u8 v6, v9
	s_waitcnt lgkmcnt(0)
	; wave barrier
	ds_write_b64 v5, v[7:8]
	v_and_b32_e32 v8, 60, v0
	v_or_b32_e32 v9, 2, v8
	v_add_u32_e32 v7, 4, v8
	v_and_b32_e32 v10, 3, v0
	v_sub_u32_e32 v11, v7, v9
	v_sub_u32_e32 v13, v9, v8
	;; [unrolled: 1-line block ×3, first 2 shown]
	v_cmp_ge_i32_e32 vcc, v10, v11
	v_cndmask_b32_e32 v11, 0, v14, vcc
	v_min_i32_e32 v13, v10, v13
	v_lshlrev_b32_e32 v12, 3, v8
	v_cmp_lt_i32_e32 vcc, v11, v13
	s_waitcnt lgkmcnt(0)
	; wave barrier
	s_and_saveexec_b64 s[0:1], vcc
	s_cbranch_execz .LBB12_8
; %bb.5:
	v_lshlrev_b32_e32 v14, 3, v10
	v_lshl_add_u32 v14, v9, 3, v14
	s_mov_b64 s[2:3], 0
.LBB12_6:                               ; =>This Inner Loop Header: Depth=1
	v_sub_u32_e32 v15, v13, v11
	v_lshrrev_b32_e32 v15, 1, v15
	v_add_u32_e32 v19, v15, v11
	v_not_b32_e32 v16, v19
	v_lshl_add_u32 v15, v19, 3, v12
	v_lshl_add_u32 v17, v16, 3, v14
	ds_read_b64 v[15:16], v15
	ds_read_b64 v[17:18], v17
	v_add_u32_e32 v20, 1, v19
	s_waitcnt lgkmcnt(0)
	v_cmp_lt_u64_e32 vcc, v[17:18], v[15:16]
	v_cndmask_b32_e32 v13, v13, v19, vcc
	v_cndmask_b32_e32 v11, v20, v11, vcc
	v_cmp_ge_i32_e32 vcc, v11, v13
	s_or_b64 s[2:3], vcc, s[2:3]
	s_andn2_b64 exec, exec, s[2:3]
	s_cbranch_execnz .LBB12_6
; %bb.7:
	s_or_b64 exec, exec, s[2:3]
.LBB12_8:
	s_or_b64 exec, exec, s[0:1]
	v_add_u32_e32 v10, v9, v10
	v_sub_u32_e32 v10, v10, v11
	v_lshl_add_u32 v12, v11, 3, v12
	v_lshlrev_b32_e32 v14, 3, v10
	ds_read_b64 v[12:13], v12
	ds_read_b64 v[14:15], v14
	v_add_u32_e32 v11, v11, v8
	v_cmp_le_i32_e32 vcc, v9, v11
	v_cmp_gt_i32_e64 s[2:3], v7, v10
	s_waitcnt lgkmcnt(0)
	v_cmp_lt_u64_e64 s[0:1], v[14:15], v[12:13]
	; wave barrier
	s_or_b64 s[0:1], vcc, s[0:1]
	s_and_b64 vcc, s[2:3], s[0:1]
	v_cndmask_b32_e32 v8, v13, v15, vcc
	v_cndmask_b32_e32 v7, v12, v14, vcc
	;; [unrolled: 1-line block ×3, first 2 shown]
	ds_write_b8 v0, v6
	s_waitcnt lgkmcnt(0)
	; wave barrier
	ds_read_u8 v6, v9
	s_waitcnt lgkmcnt(0)
	; wave barrier
	ds_write_b64 v5, v[7:8]
	v_and_b32_e32 v8, 56, v0
	v_or_b32_e32 v9, 4, v8
	v_add_u32_e32 v7, 8, v8
	v_and_b32_e32 v10, 7, v0
	v_sub_u32_e32 v11, v7, v9
	v_sub_u32_e32 v13, v9, v8
	;; [unrolled: 1-line block ×3, first 2 shown]
	v_cmp_ge_i32_e32 vcc, v10, v11
	v_cndmask_b32_e32 v11, 0, v14, vcc
	v_min_i32_e32 v13, v10, v13
	v_lshlrev_b32_e32 v12, 3, v8
	v_cmp_lt_i32_e32 vcc, v11, v13
	s_waitcnt lgkmcnt(0)
	; wave barrier
	s_and_saveexec_b64 s[0:1], vcc
	s_cbranch_execz .LBB12_12
; %bb.9:
	v_lshlrev_b32_e32 v14, 3, v10
	v_lshl_add_u32 v14, v9, 3, v14
	s_mov_b64 s[2:3], 0
.LBB12_10:                              ; =>This Inner Loop Header: Depth=1
	v_sub_u32_e32 v15, v13, v11
	v_lshrrev_b32_e32 v15, 1, v15
	v_add_u32_e32 v19, v15, v11
	v_not_b32_e32 v16, v19
	v_lshl_add_u32 v15, v19, 3, v12
	v_lshl_add_u32 v17, v16, 3, v14
	ds_read_b64 v[15:16], v15
	ds_read_b64 v[17:18], v17
	v_add_u32_e32 v20, 1, v19
	s_waitcnt lgkmcnt(0)
	v_cmp_lt_u64_e32 vcc, v[17:18], v[15:16]
	v_cndmask_b32_e32 v13, v13, v19, vcc
	v_cndmask_b32_e32 v11, v20, v11, vcc
	v_cmp_ge_i32_e32 vcc, v11, v13
	s_or_b64 s[2:3], vcc, s[2:3]
	s_andn2_b64 exec, exec, s[2:3]
	s_cbranch_execnz .LBB12_10
; %bb.11:
	s_or_b64 exec, exec, s[2:3]
.LBB12_12:
	s_or_b64 exec, exec, s[0:1]
	v_add_u32_e32 v10, v9, v10
	v_sub_u32_e32 v10, v10, v11
	v_lshl_add_u32 v12, v11, 3, v12
	v_lshlrev_b32_e32 v14, 3, v10
	ds_read_b64 v[12:13], v12
	ds_read_b64 v[14:15], v14
	v_add_u32_e32 v11, v11, v8
	v_cmp_le_i32_e32 vcc, v9, v11
	v_cmp_gt_i32_e64 s[2:3], v7, v10
	s_waitcnt lgkmcnt(0)
	v_cmp_lt_u64_e64 s[0:1], v[14:15], v[12:13]
	; wave barrier
	s_or_b64 s[0:1], vcc, s[0:1]
	s_and_b64 vcc, s[2:3], s[0:1]
	v_cndmask_b32_e32 v8, v13, v15, vcc
	v_cndmask_b32_e32 v7, v12, v14, vcc
	;; [unrolled: 1-line block ×3, first 2 shown]
	ds_write_b8 v0, v6
	s_waitcnt lgkmcnt(0)
	; wave barrier
	ds_read_u8 v6, v9
	s_waitcnt lgkmcnt(0)
	; wave barrier
	ds_write_b64 v5, v[7:8]
	v_and_b32_e32 v8, 48, v0
	v_or_b32_e32 v9, 8, v8
	v_add_u32_e32 v7, 16, v8
	v_and_b32_e32 v10, 15, v0
	v_sub_u32_e32 v11, v7, v9
	v_sub_u32_e32 v13, v9, v8
	v_sub_u32_e32 v14, v10, v11
	v_cmp_ge_i32_e32 vcc, v10, v11
	v_cndmask_b32_e32 v11, 0, v14, vcc
	v_min_i32_e32 v13, v10, v13
	v_lshlrev_b32_e32 v12, 3, v8
	v_cmp_lt_i32_e32 vcc, v11, v13
	s_waitcnt lgkmcnt(0)
	; wave barrier
	s_and_saveexec_b64 s[0:1], vcc
	s_cbranch_execz .LBB12_16
; %bb.13:
	v_lshlrev_b32_e32 v14, 3, v10
	v_lshl_add_u32 v14, v9, 3, v14
	s_mov_b64 s[2:3], 0
.LBB12_14:                              ; =>This Inner Loop Header: Depth=1
	v_sub_u32_e32 v15, v13, v11
	v_lshrrev_b32_e32 v15, 1, v15
	v_add_u32_e32 v19, v15, v11
	v_not_b32_e32 v16, v19
	v_lshl_add_u32 v15, v19, 3, v12
	v_lshl_add_u32 v17, v16, 3, v14
	ds_read_b64 v[15:16], v15
	ds_read_b64 v[17:18], v17
	v_add_u32_e32 v20, 1, v19
	s_waitcnt lgkmcnt(0)
	v_cmp_lt_u64_e32 vcc, v[17:18], v[15:16]
	v_cndmask_b32_e32 v13, v13, v19, vcc
	v_cndmask_b32_e32 v11, v20, v11, vcc
	v_cmp_ge_i32_e32 vcc, v11, v13
	s_or_b64 s[2:3], vcc, s[2:3]
	s_andn2_b64 exec, exec, s[2:3]
	s_cbranch_execnz .LBB12_14
; %bb.15:
	s_or_b64 exec, exec, s[2:3]
.LBB12_16:
	s_or_b64 exec, exec, s[0:1]
	v_add_u32_e32 v10, v9, v10
	v_sub_u32_e32 v10, v10, v11
	v_lshl_add_u32 v12, v11, 3, v12
	v_lshlrev_b32_e32 v14, 3, v10
	ds_read_b64 v[12:13], v12
	ds_read_b64 v[14:15], v14
	v_add_u32_e32 v11, v11, v8
	v_cmp_le_i32_e32 vcc, v9, v11
	v_cmp_gt_i32_e64 s[2:3], v7, v10
	s_waitcnt lgkmcnt(0)
	v_cmp_lt_u64_e64 s[0:1], v[14:15], v[12:13]
	; wave barrier
	s_or_b64 s[0:1], vcc, s[0:1]
	s_and_b64 vcc, s[2:3], s[0:1]
	v_cndmask_b32_e32 v8, v13, v15, vcc
	v_cndmask_b32_e32 v7, v12, v14, vcc
	;; [unrolled: 1-line block ×3, first 2 shown]
	ds_write_b8 v0, v6
	s_waitcnt lgkmcnt(0)
	; wave barrier
	ds_read_u8 v6, v9
	s_waitcnt lgkmcnt(0)
	; wave barrier
	ds_write_b64 v5, v[7:8]
	v_and_b32_e32 v8, 32, v0
	v_or_b32_e32 v9, 16, v8
	v_add_u32_e32 v7, 32, v8
	v_and_b32_e32 v10, 31, v0
	v_sub_u32_e32 v11, v7, v9
	v_sub_u32_e32 v13, v9, v8
	;; [unrolled: 1-line block ×3, first 2 shown]
	v_cmp_ge_i32_e32 vcc, v10, v11
	v_cndmask_b32_e32 v11, 0, v14, vcc
	v_min_i32_e32 v13, v10, v13
	v_lshlrev_b32_e32 v12, 3, v8
	v_cmp_lt_i32_e32 vcc, v11, v13
	s_waitcnt lgkmcnt(0)
	; wave barrier
	s_and_saveexec_b64 s[0:1], vcc
	s_cbranch_execz .LBB12_20
; %bb.17:
	v_lshlrev_b32_e32 v14, 3, v10
	v_lshl_add_u32 v14, v9, 3, v14
	s_mov_b64 s[2:3], 0
.LBB12_18:                              ; =>This Inner Loop Header: Depth=1
	v_sub_u32_e32 v15, v13, v11
	v_lshrrev_b32_e32 v15, 1, v15
	v_add_u32_e32 v19, v15, v11
	v_not_b32_e32 v16, v19
	v_lshl_add_u32 v15, v19, 3, v12
	v_lshl_add_u32 v17, v16, 3, v14
	ds_read_b64 v[15:16], v15
	ds_read_b64 v[17:18], v17
	v_add_u32_e32 v20, 1, v19
	s_waitcnt lgkmcnt(0)
	v_cmp_lt_u64_e32 vcc, v[17:18], v[15:16]
	v_cndmask_b32_e32 v13, v13, v19, vcc
	v_cndmask_b32_e32 v11, v20, v11, vcc
	v_cmp_ge_i32_e32 vcc, v11, v13
	s_or_b64 s[2:3], vcc, s[2:3]
	s_andn2_b64 exec, exec, s[2:3]
	s_cbranch_execnz .LBB12_18
; %bb.19:
	s_or_b64 exec, exec, s[2:3]
.LBB12_20:
	s_or_b64 exec, exec, s[0:1]
	v_add_u32_e32 v10, v9, v10
	v_sub_u32_e32 v10, v10, v11
	v_lshl_add_u32 v12, v11, 3, v12
	v_lshlrev_b32_e32 v14, 3, v10
	ds_read_b64 v[12:13], v12
	ds_read_b64 v[14:15], v14
	v_add_u32_e32 v11, v11, v8
	v_cmp_le_i32_e32 vcc, v9, v11
	v_cmp_gt_i32_e64 s[2:3], v7, v10
	s_waitcnt lgkmcnt(0)
	v_cmp_lt_u64_e64 s[0:1], v[14:15], v[12:13]
	; wave barrier
	s_or_b64 s[0:1], vcc, s[0:1]
	s_and_b64 vcc, s[2:3], s[0:1]
	v_cndmask_b32_e32 v9, v11, v10, vcc
	ds_write_b8 v0, v6
	s_waitcnt lgkmcnt(0)
	; wave barrier
	ds_read_u8 v6, v9
	v_cndmask_b32_e32 v8, v13, v15, vcc
	v_cndmask_b32_e32 v7, v12, v14, vcc
	s_waitcnt lgkmcnt(0)
	; wave barrier
	ds_write_b64 v5, v[7:8]
	v_sub_u32_e64 v7, v0, 32 clamp
	v_min_i32_e32 v8, 32, v0
	v_cmp_lt_i32_e32 vcc, v7, v8
	s_waitcnt lgkmcnt(0)
	; wave barrier
	s_and_saveexec_b64 s[0:1], vcc
	s_cbranch_execz .LBB12_24
; %bb.21:
	v_lshl_add_u32 v5, 32, 3, v5
	s_mov_b64 s[2:3], 0
.LBB12_22:                              ; =>This Inner Loop Header: Depth=1
	v_sub_u32_e32 v9, v8, v7
	v_lshrrev_b32_e32 v9, 1, v9
	v_add_u32_e32 v13, v9, v7
	v_not_b32_e32 v10, v13
	v_lshlrev_b32_e32 v9, 3, v13
	v_lshl_add_u32 v11, v10, 3, v5
	ds_read_b64 v[9:10], v9
	ds_read_b64 v[11:12], v11
	v_add_u32_e32 v14, 1, v13
	s_waitcnt lgkmcnt(0)
	v_cmp_lt_u64_e32 vcc, v[11:12], v[9:10]
	v_cndmask_b32_e32 v8, v8, v13, vcc
	v_cndmask_b32_e32 v7, v14, v7, vcc
	v_cmp_ge_i32_e32 vcc, v7, v8
	s_or_b64 s[2:3], vcc, s[2:3]
	s_andn2_b64 exec, exec, s[2:3]
	s_cbranch_execnz .LBB12_22
; %bb.23:
	s_or_b64 exec, exec, s[2:3]
.LBB12_24:
	s_or_b64 exec, exec, s[0:1]
	v_add_u32_e32 v5, 32, v0
	v_sub_u32_e32 v5, v5, v7
	v_lshlrev_b32_e32 v8, 3, v7
	v_lshlrev_b32_e32 v10, 3, v5
	ds_read_b64 v[8:9], v8
	ds_read_b64 v[10:11], v10
	v_cmp_le_i32_e32 vcc, 32, v7
	v_cmp_gt_i32_e64 s[2:3], 64, v5
	s_waitcnt lgkmcnt(0)
	; wave barrier
	v_cmp_lt_u64_e64 s[0:1], v[10:11], v[8:9]
	ds_write_b8 v0, v6
	s_or_b64 s[0:1], vcc, s[0:1]
	s_and_b64 vcc, s[2:3], s[0:1]
	v_cndmask_b32_e32 v5, v7, v5, vcc
	s_waitcnt lgkmcnt(0)
	; wave barrier
	ds_read_u8 v0, v5
	v_cndmask_b32_e32 v9, v9, v11, vcc
	v_cndmask_b32_e32 v8, v8, v10, vcc
	global_store_dwordx2 v[1:2], v[8:9], off
	s_waitcnt lgkmcnt(0)
	global_store_byte v[3:4], v0, off
	s_endpgm
	.section	.rodata,"a",@progbits
	.p2align	6, 0x0
	.amdhsa_kernel _Z21sort_key_value_kernelILj64ELj1EycN10test_utils4lessEEvPT1_PT2_T3_
		.amdhsa_group_segment_fixed_size 520
		.amdhsa_private_segment_fixed_size 0
		.amdhsa_kernarg_size 20
		.amdhsa_user_sgpr_count 6
		.amdhsa_user_sgpr_private_segment_buffer 1
		.amdhsa_user_sgpr_dispatch_ptr 0
		.amdhsa_user_sgpr_queue_ptr 0
		.amdhsa_user_sgpr_kernarg_segment_ptr 1
		.amdhsa_user_sgpr_dispatch_id 0
		.amdhsa_user_sgpr_flat_scratch_init 0
		.amdhsa_user_sgpr_private_segment_size 0
		.amdhsa_uses_dynamic_stack 0
		.amdhsa_system_sgpr_private_segment_wavefront_offset 0
		.amdhsa_system_sgpr_workgroup_id_x 1
		.amdhsa_system_sgpr_workgroup_id_y 0
		.amdhsa_system_sgpr_workgroup_id_z 0
		.amdhsa_system_sgpr_workgroup_info 0
		.amdhsa_system_vgpr_workitem_id 0
		.amdhsa_next_free_vgpr 21
		.amdhsa_next_free_sgpr 8
		.amdhsa_reserve_vcc 1
		.amdhsa_reserve_flat_scratch 0
		.amdhsa_float_round_mode_32 0
		.amdhsa_float_round_mode_16_64 0
		.amdhsa_float_denorm_mode_32 3
		.amdhsa_float_denorm_mode_16_64 3
		.amdhsa_dx10_clamp 1
		.amdhsa_ieee_mode 1
		.amdhsa_fp16_overflow 0
		.amdhsa_exception_fp_ieee_invalid_op 0
		.amdhsa_exception_fp_denorm_src 0
		.amdhsa_exception_fp_ieee_div_zero 0
		.amdhsa_exception_fp_ieee_overflow 0
		.amdhsa_exception_fp_ieee_underflow 0
		.amdhsa_exception_fp_ieee_inexact 0
		.amdhsa_exception_int_div_zero 0
	.end_amdhsa_kernel
	.section	.text._Z21sort_key_value_kernelILj64ELj1EycN10test_utils4lessEEvPT1_PT2_T3_,"axG",@progbits,_Z21sort_key_value_kernelILj64ELj1EycN10test_utils4lessEEvPT1_PT2_T3_,comdat
.Lfunc_end12:
	.size	_Z21sort_key_value_kernelILj64ELj1EycN10test_utils4lessEEvPT1_PT2_T3_, .Lfunc_end12-_Z21sort_key_value_kernelILj64ELj1EycN10test_utils4lessEEvPT1_PT2_T3_
                                        ; -- End function
	.set _Z21sort_key_value_kernelILj64ELj1EycN10test_utils4lessEEvPT1_PT2_T3_.num_vgpr, 21
	.set _Z21sort_key_value_kernelILj64ELj1EycN10test_utils4lessEEvPT1_PT2_T3_.num_agpr, 0
	.set _Z21sort_key_value_kernelILj64ELj1EycN10test_utils4lessEEvPT1_PT2_T3_.numbered_sgpr, 8
	.set _Z21sort_key_value_kernelILj64ELj1EycN10test_utils4lessEEvPT1_PT2_T3_.num_named_barrier, 0
	.set _Z21sort_key_value_kernelILj64ELj1EycN10test_utils4lessEEvPT1_PT2_T3_.private_seg_size, 0
	.set _Z21sort_key_value_kernelILj64ELj1EycN10test_utils4lessEEvPT1_PT2_T3_.uses_vcc, 1
	.set _Z21sort_key_value_kernelILj64ELj1EycN10test_utils4lessEEvPT1_PT2_T3_.uses_flat_scratch, 0
	.set _Z21sort_key_value_kernelILj64ELj1EycN10test_utils4lessEEvPT1_PT2_T3_.has_dyn_sized_stack, 0
	.set _Z21sort_key_value_kernelILj64ELj1EycN10test_utils4lessEEvPT1_PT2_T3_.has_recursion, 0
	.set _Z21sort_key_value_kernelILj64ELj1EycN10test_utils4lessEEvPT1_PT2_T3_.has_indirect_call, 0
	.section	.AMDGPU.csdata,"",@progbits
; Kernel info:
; codeLenInByte = 1760
; TotalNumSgprs: 12
; NumVgprs: 21
; ScratchSize: 0
; MemoryBound: 0
; FloatMode: 240
; IeeeMode: 1
; LDSByteSize: 520 bytes/workgroup (compile time only)
; SGPRBlocks: 1
; VGPRBlocks: 5
; NumSGPRsForWavesPerEU: 12
; NumVGPRsForWavesPerEU: 21
; Occupancy: 10
; WaveLimiterHint : 0
; COMPUTE_PGM_RSRC2:SCRATCH_EN: 0
; COMPUTE_PGM_RSRC2:USER_SGPR: 6
; COMPUTE_PGM_RSRC2:TRAP_HANDLER: 0
; COMPUTE_PGM_RSRC2:TGID_X_EN: 1
; COMPUTE_PGM_RSRC2:TGID_Y_EN: 0
; COMPUTE_PGM_RSRC2:TGID_Z_EN: 0
; COMPUTE_PGM_RSRC2:TIDIG_COMP_CNT: 0
	.section	.text._Z21sort_key_value_kernelILj256ELj7EtcN10test_utils4lessEEvPT1_PT2_T3_,"axG",@progbits,_Z21sort_key_value_kernelILj256ELj7EtcN10test_utils4lessEEvPT1_PT2_T3_,comdat
	.protected	_Z21sort_key_value_kernelILj256ELj7EtcN10test_utils4lessEEvPT1_PT2_T3_ ; -- Begin function _Z21sort_key_value_kernelILj256ELj7EtcN10test_utils4lessEEvPT1_PT2_T3_
	.globl	_Z21sort_key_value_kernelILj256ELj7EtcN10test_utils4lessEEvPT1_PT2_T3_
	.p2align	8
	.type	_Z21sort_key_value_kernelILj256ELj7EtcN10test_utils4lessEEvPT1_PT2_T3_,@function
_Z21sort_key_value_kernelILj256ELj7EtcN10test_utils4lessEEvPT1_PT2_T3_: ; @_Z21sort_key_value_kernelILj256ELj7EtcN10test_utils4lessEEvPT1_PT2_T3_
; %bb.0:
	s_load_dwordx4 s[0:3], s[4:5], 0x0
	s_mul_i32 s4, s6, 0x700
	s_mov_b32 s5, 0
	s_lshl_b64 s[6:7], s[4:5], 1
	v_mul_u32_u24_e32 v9, 7, v0
	s_waitcnt lgkmcnt(0)
	s_add_u32 s0, s0, s6
	s_addc_u32 s1, s1, s7
	v_lshlrev_b32_e32 v10, 1, v9
	global_load_ushort v13, v10, s[0:1] offset:12
	global_load_dwordx3 v[6:8], v10, s[0:1]
	s_add_u32 s2, s2, s4
	s_addc_u32 s3, s3, 0
	global_load_ushort v11, v9, s[2:3] offset:4
	global_load_sbyte v12, v9, s[2:3] offset:6
	global_load_dword v5, v9, s[2:3]
	v_mov_b32_e32 v1, s1
	v_add_co_u32_e32 v3, vcc, s0, v10
	v_addc_co_u32_e32 v4, vcc, 0, v1, vcc
	v_mov_b32_e32 v2, s3
	v_add_co_u32_e32 v1, vcc, s2, v9
	v_addc_co_u32_e32 v2, vcc, 0, v2, vcc
	s_mov_b32 s30, 0x5040100
	s_mov_b32 s31, 0xffff
	s_waitcnt vmcnt(0)
	s_barrier
	v_and_b32_e32 v14, 0xffff, v13
	v_alignbit_b32 v15, v6, v6, 16
	v_cmp_lt_u16_sdwa s[6:7], v6, v6 src0_sel:WORD_1 src1_sel:DWORD
	v_alignbit_b32 v16, v7, v7, 16
	v_cndmask_b32_e64 v15, v6, v15, s[6:7]
	v_cmp_lt_u16_sdwa s[2:3], v7, v7 src0_sel:WORD_1 src1_sel:DWORD
	v_alignbit_b32 v17, v8, v8, 16
	v_cndmask_b32_e64 v16, v7, v16, s[2:3]
	v_cmp_lt_u16_sdwa vcc, v8, v8 src0_sel:WORD_1 src1_sel:DWORD
	v_and_b32_e32 v6, 0xffff, v11
	v_lshrrev_b32_e32 v18, 16, v15
	v_cndmask_b32_e32 v17, v8, v17, vcc
	v_perm_b32 v19, v16, v15, s30
	v_lshrrev_b64 v[7:8], 24, v[5:6]
	v_cmp_lt_u16_e64 s[4:5], v16, v18
	v_cndmask_b32_e64 v8, v15, v19, s[4:5]
	v_bfi_b32 v15, s31, v18, v16
	v_cndmask_b32_e64 v15, v16, v15, s[4:5]
	v_alignbit_b32 v16, v8, v8, 16
	v_lshrrev_b32_e32 v18, 16, v15
	v_cmp_lt_u16_sdwa s[0:1], v8, v8 src0_sel:WORD_1 src1_sel:DWORD
	v_cndmask_b32_e64 v8, v8, v16, s[0:1]
	v_perm_b32 v16, v17, v15, s30
	v_bfi_b32 v19, s31, v18, v17
	v_cmp_lt_u16_e64 s[8:9], v17, v18
	v_cndmask_b32_e64 v15, v15, v16, s[8:9]
	v_cndmask_b32_e64 v17, v17, v19, s[8:9]
	v_alignbit_b32 v18, v15, v15, 16
	v_lshrrev_b32_e32 v19, 16, v17
	v_cmp_lt_u16_sdwa s[10:11], v15, v15 src0_sel:WORD_1 src1_sel:DWORD
	v_lshrrev_b32_e32 v16, 16, v8
	v_cndmask_b32_e64 v15, v15, v18, s[10:11]
	v_perm_b32 v18, v13, v17, s30
	v_cmp_lt_u16_e64 s[14:15], v13, v19
	v_cndmask_b32_e64 v13, v17, v18, s[14:15]
	v_bfi_b32 v17, s31, v16, v15
	v_perm_b32 v18, v15, v8, s30
	v_cmp_lt_u16_e64 s[12:13], v15, v16
	v_cndmask_b32_e64 v14, v14, v19, s[14:15]
	v_alignbit_b32 v19, v13, v13, 16
	v_cndmask_b32_e64 v15, v15, v17, s[12:13]
	v_cndmask_b32_e64 v8, v8, v18, s[12:13]
	v_cmp_lt_u16_sdwa s[18:19], v13, v13 src0_sel:WORD_1 src1_sel:DWORD
	v_cndmask_b32_e64 v13, v13, v19, s[18:19]
	v_lshrrev_b32_e32 v16, 16, v15
	v_alignbit_b32 v17, v8, v8, 16
	v_cmp_lt_u16_sdwa s[16:17], v8, v8 src0_sel:WORD_1 src1_sel:DWORD
	v_bfi_b32 v18, s31, v16, v13
	v_cndmask_b32_e64 v8, v8, v17, s[16:17]
	v_perm_b32 v17, v13, v15, s30
	v_cmp_lt_u16_e64 s[20:21], v13, v16
	v_cndmask_b32_e64 v15, v15, v17, s[20:21]
	v_cndmask_b32_e64 v13, v13, v18, s[20:21]
	v_lshrrev_b32_e32 v17, 16, v13
	v_alignbit_b32 v19, v15, v15, 16
	v_cmp_lt_u16_sdwa s[22:23], v15, v15 src0_sel:WORD_1 src1_sel:DWORD
	v_lshrrev_b32_e32 v16, 16, v8
	v_perm_b32 v18, v14, v13, s30
	v_cmp_lt_u16_e64 s[24:25], v14, v17
	v_cndmask_b32_e64 v15, v15, v19, s[22:23]
	v_cndmask_b32_e64 v13, v13, v18, s[24:25]
	v_bfi_b32 v18, s31, v16, v15
	v_cmp_lt_u16_e64 s[28:29], v15, v16
	v_cndmask_b32_e64 v14, v14, v17, s[24:25]
	v_alignbit_b32 v17, v13, v13, 16
	v_perm_b32 v19, v15, v8, s30
	v_cmp_lt_u16_sdwa s[26:27], v13, v13 src0_sel:WORD_1 src1_sel:DWORD
	v_cndmask_b32_e64 v15, v15, v18, s[28:29]
	v_cndmask_b32_e64 v13, v13, v17, s[26:27]
	v_lshrrev_b32_e32 v16, 16, v15
	v_cndmask_b32_e64 v8, v8, v19, s[28:29]
	v_bfi_b32 v19, s31, v16, v13
	v_cmp_lt_u16_e64 s[40:41], v13, v16
	v_perm_b32 v17, v13, v15, s30
	v_cndmask_b32_e64 v13, v13, v19, s[40:41]
	v_lshrrev_b32_e32 v16, 16, v13
	v_alignbit_b32 v18, v8, v8, 16
	v_cndmask_b32_e64 v15, v15, v17, s[40:41]
	v_perm_b32 v17, v14, v13, s30
	v_cmp_lt_u16_e64 s[30:31], v14, v16
	v_cmp_lt_u16_sdwa s[36:37], v8, v8 src0_sel:WORD_1 src1_sel:DWORD
	v_cndmask_b32_e64 v17, v13, v17, s[30:31]
	v_cndmask_b32_e64 v13, v8, v18, s[36:37]
	v_alignbit_b32 v8, v15, v15, 16
	v_cmp_lt_u16_sdwa s[34:35], v15, v15 src0_sel:WORD_1 src1_sel:DWORD
	v_cndmask_b32_e64 v16, v14, v16, s[30:31]
	v_cndmask_b32_e64 v14, v15, v8, s[34:35]
	v_alignbit_b32 v8, v17, v17, 16
	v_cmp_lt_u16_sdwa s[38:39], v17, v17 src0_sel:WORD_1 src1_sel:DWORD
	v_cndmask_b32_e64 v15, v17, v8, s[38:39]
	v_and_b32_e32 v8, 0xfe, v0
	ds_write_b96 v10, v[13:15]
	ds_write_b16 v10, v16 offset:12
	v_mul_u32_u24_e32 v13, 7, v8
	v_and_b32_e32 v8, 1, v0
	v_min_u32_e32 v16, 0x700, v13
	v_min_u32_e32 v17, 0x6f9, v13
	;; [unrolled: 1-line block ×3, first 2 shown]
	v_cmp_eq_u32_e64 s[42:43], 1, v8
	v_add_u32_e32 v8, 7, v17
	v_add_u32_e32 v13, 14, v13
	v_cndmask_b32_e64 v19, 0, 7, s[42:43]
	v_sub_u32_e32 v14, v13, v8
	v_sub_u32_e32 v15, v19, v14
	;; [unrolled: 1-line block ×3, first 2 shown]
	v_cmp_ge_i32_e64 s[42:43], v19, v14
	v_cndmask_b32_e64 v20, 0, v15, s[42:43]
	v_min_i32_e32 v14, v19, v18
	v_cmp_lt_i32_e64 s[42:43], v20, v14
	v_lshlrev_b32_e32 v18, 1, v16
	s_waitcnt lgkmcnt(0)
	s_barrier
	s_and_saveexec_b64 s[44:45], s[42:43]
	s_cbranch_execz .LBB13_4
; %bb.1:
	v_lshlrev_b32_e32 v15, 1, v19
	v_lshl_add_u32 v15, v17, 1, v15
	s_mov_b64 s[46:47], 0
.LBB13_2:                               ; =>This Inner Loop Header: Depth=1
	v_sub_u32_e32 v21, v14, v20
	v_lshrrev_b32_e32 v21, 1, v21
	v_add_u32_e32 v21, v21, v20
	v_not_b32_e32 v23, v21
	v_lshl_add_u32 v22, v21, 1, v18
	v_lshl_add_u32 v23, v23, 1, v15
	ds_read_u16 v22, v22
	ds_read_u16 v23, v23 offset:14
	v_add_u32_e32 v24, 1, v21
	s_waitcnt lgkmcnt(0)
	v_cmp_lt_u16_e64 s[42:43], v23, v22
	v_cndmask_b32_e64 v14, v14, v21, s[42:43]
	v_cndmask_b32_e64 v20, v24, v20, s[42:43]
	v_cmp_ge_i32_e64 s[42:43], v20, v14
	s_or_b64 s[46:47], s[42:43], s[46:47]
	s_andn2_b64 exec, exec, s[46:47]
	s_cbranch_execnz .LBB13_2
; %bb.3:
	s_or_b64 exec, exec, s[46:47]
.LBB13_4:
	s_or_b64 exec, exec, s[44:45]
	v_add_u32_e32 v17, v17, v19
	v_lshl_add_u32 v21, v20, 1, v18
	v_sub_u32_e32 v17, v17, v20
	v_lshlrev_b32_e32 v22, 1, v17
	ds_read_u16 v17, v21
	ds_read_u16 v18, v22 offset:14
	v_add_u32_e32 v16, v20, v16
	v_add_u32_e32 v19, v8, v19
	v_sub_u32_e32 v19, v19, v20
	v_cmp_le_i32_e64 s[44:45], v8, v16
	s_waitcnt lgkmcnt(0)
	v_cmp_lt_u16_e64 s[46:47], v18, v17
	v_cmp_gt_i32_e64 s[42:43], v13, v19
	s_or_b64 s[44:45], s[44:45], s[46:47]
	s_and_b64 s[42:43], s[42:43], s[44:45]
	v_lshrrev_b32_e32 v14, 16, v5
	v_lshrrev_b32_e32 v15, 8, v5
	;; [unrolled: 1-line block ×3, first 2 shown]
	s_xor_b64 s[44:45], s[42:43], -1
                                        ; implicit-def: $vgpr20
	s_and_saveexec_b64 s[46:47], s[44:45]
	s_xor_b64 s[44:45], exec, s[46:47]
; %bb.5:
	ds_read_u16 v20, v21 offset:2
                                        ; implicit-def: $vgpr22
; %bb.6:
	s_or_saveexec_b64 s[44:45], s[44:45]
	v_mov_b32_e32 v21, v18
	s_xor_b64 exec, exec, s[44:45]
	s_cbranch_execz .LBB13_8
; %bb.7:
	ds_read_u16 v21, v22 offset:16
	s_waitcnt lgkmcnt(1)
	v_mov_b32_e32 v20, v17
.LBB13_8:
	s_or_b64 exec, exec, s[44:45]
	v_add_u32_e32 v23, 1, v16
	v_add_u32_e32 v22, 1, v19
	v_cndmask_b32_e64 v23, v23, v16, s[42:43]
	v_cndmask_b32_e64 v22, v19, v22, s[42:43]
	v_cmp_ge_i32_e64 s[46:47], v23, v8
	s_waitcnt lgkmcnt(0)
	v_cmp_lt_u16_e64 s[48:49], v21, v20
	v_cmp_lt_i32_e64 s[44:45], v22, v13
	s_or_b64 s[46:47], s[46:47], s[48:49]
	s_and_b64 s[44:45], s[44:45], s[46:47]
	s_xor_b64 s[46:47], s[44:45], -1
                                        ; implicit-def: $vgpr24
	s_and_saveexec_b64 s[48:49], s[46:47]
	s_xor_b64 s[46:47], exec, s[48:49]
; %bb.9:
	v_lshlrev_b32_e32 v24, 1, v23
	ds_read_u16 v24, v24 offset:2
; %bb.10:
	s_or_saveexec_b64 s[46:47], s[46:47]
	v_mov_b32_e32 v25, v21
	s_xor_b64 exec, exec, s[46:47]
	s_cbranch_execz .LBB13_12
; %bb.11:
	s_waitcnt lgkmcnt(0)
	v_lshlrev_b32_e32 v24, 1, v22
	ds_read_u16 v25, v24 offset:2
	v_mov_b32_e32 v24, v20
.LBB13_12:
	s_or_b64 exec, exec, s[46:47]
	v_add_u32_e32 v27, 1, v23
	v_add_u32_e32 v26, 1, v22
	v_cndmask_b32_e64 v27, v27, v23, s[44:45]
	v_cndmask_b32_e64 v26, v22, v26, s[44:45]
	v_cmp_ge_i32_e64 s[48:49], v27, v8
	s_waitcnt lgkmcnt(0)
	v_cmp_lt_u16_e64 s[50:51], v25, v24
	v_cmp_lt_i32_e64 s[46:47], v26, v13
	s_or_b64 s[48:49], s[48:49], s[50:51]
	s_and_b64 s[46:47], s[46:47], s[48:49]
	s_xor_b64 s[48:49], s[46:47], -1
                                        ; implicit-def: $vgpr28
	s_and_saveexec_b64 s[50:51], s[48:49]
	s_xor_b64 s[48:49], exec, s[50:51]
; %bb.13:
	v_lshlrev_b32_e32 v28, 1, v27
	ds_read_u16 v28, v28 offset:2
; %bb.14:
	s_or_saveexec_b64 s[48:49], s[48:49]
	v_mov_b32_e32 v30, v25
	s_xor_b64 exec, exec, s[48:49]
	s_cbranch_execz .LBB13_16
; %bb.15:
	s_waitcnt lgkmcnt(0)
	v_lshlrev_b32_e32 v28, 1, v26
	ds_read_u16 v30, v28 offset:2
	v_mov_b32_e32 v28, v24
.LBB13_16:
	s_or_b64 exec, exec, s[48:49]
	v_add_u32_e32 v31, 1, v27
	v_add_u32_e32 v29, 1, v26
	v_cndmask_b32_e64 v33, v31, v27, s[46:47]
	v_cndmask_b32_e64 v32, v26, v29, s[46:47]
	v_cmp_ge_i32_e64 s[50:51], v33, v8
	s_waitcnt lgkmcnt(0)
	v_cmp_lt_u16_e64 s[52:53], v30, v28
	v_cmp_lt_i32_e64 s[48:49], v32, v13
	s_or_b64 s[50:51], s[50:51], s[52:53]
	s_and_b64 s[48:49], s[48:49], s[50:51]
	s_xor_b64 s[50:51], s[48:49], -1
                                        ; implicit-def: $vgpr34
	s_and_saveexec_b64 s[52:53], s[50:51]
	s_xor_b64 s[50:51], exec, s[52:53]
; %bb.17:
	v_lshlrev_b32_e32 v29, 1, v33
	ds_read_u16 v34, v29 offset:2
; %bb.18:
	s_or_saveexec_b64 s[50:51], s[50:51]
	v_mov_b32_e32 v35, v30
	s_xor_b64 exec, exec, s[50:51]
	s_cbranch_execz .LBB13_20
; %bb.19:
	v_lshlrev_b32_e32 v29, 1, v32
	ds_read_u16 v35, v29 offset:2
	s_waitcnt lgkmcnt(1)
	v_mov_b32_e32 v34, v28
.LBB13_20:
	s_or_b64 exec, exec, s[50:51]
	v_add_u32_e32 v31, 1, v33
	v_add_u32_e32 v29, 1, v32
	v_cndmask_b32_e64 v37, v31, v33, s[48:49]
	v_cndmask_b32_e64 v36, v32, v29, s[48:49]
	v_cmp_ge_i32_e64 s[52:53], v37, v8
	s_waitcnt lgkmcnt(0)
	v_cmp_lt_u16_e64 s[54:55], v35, v34
	v_cmp_lt_i32_e64 s[50:51], v36, v13
	s_or_b64 s[52:53], s[52:53], s[54:55]
	s_and_b64 s[50:51], s[50:51], s[52:53]
	s_xor_b64 s[52:53], s[50:51], -1
                                        ; implicit-def: $vgpr38
	s_and_saveexec_b64 s[54:55], s[52:53]
	s_xor_b64 s[52:53], exec, s[54:55]
; %bb.21:
	v_lshlrev_b32_e32 v29, 1, v37
	ds_read_u16 v38, v29 offset:2
; %bb.22:
	s_or_saveexec_b64 s[52:53], s[52:53]
	v_mov_b32_e32 v39, v35
	s_xor_b64 exec, exec, s[52:53]
	s_cbranch_execz .LBB13_24
; %bb.23:
	v_lshlrev_b32_e32 v29, 1, v36
	ds_read_u16 v39, v29 offset:2
	s_waitcnt lgkmcnt(1)
	v_mov_b32_e32 v38, v34
.LBB13_24:
	s_or_b64 exec, exec, s[52:53]
	v_add_u32_e32 v31, 1, v37
	v_add_u32_e32 v29, 1, v36
	v_cndmask_b32_e64 v41, v31, v37, s[50:51]
	v_cndmask_b32_e64 v40, v36, v29, s[50:51]
	v_cmp_ge_i32_e64 s[54:55], v41, v8
	s_waitcnt lgkmcnt(0)
	v_cmp_lt_u16_e64 s[56:57], v39, v38
	v_cmp_lt_i32_e64 s[52:53], v40, v13
	s_or_b64 s[54:55], s[54:55], s[56:57]
	s_and_b64 s[52:53], s[52:53], s[54:55]
	s_xor_b64 s[54:55], s[52:53], -1
                                        ; implicit-def: $vgpr29
	s_and_saveexec_b64 s[56:57], s[54:55]
	s_xor_b64 s[54:55], exec, s[56:57]
; %bb.25:
	v_lshlrev_b32_e32 v29, 1, v41
	ds_read_u16 v29, v29 offset:2
; %bb.26:
	s_or_saveexec_b64 s[54:55], s[54:55]
	v_mov_b32_e32 v31, v39
	s_xor_b64 exec, exec, s[54:55]
	s_cbranch_execz .LBB13_28
; %bb.27:
	s_waitcnt lgkmcnt(0)
	v_lshlrev_b32_e32 v29, 1, v40
	ds_read_u16 v31, v29 offset:2
	v_mov_b32_e32 v29, v38
.LBB13_28:
	s_or_b64 exec, exec, s[54:55]
	s_mov_b32 s33, 0xc0c0004
	v_cndmask_b32_e64 v16, v16, v19, s[42:43]
	v_perm_b32 v19, v14, v7, s33
	v_cndmask_b32_e64 v17, v17, v18, s[42:43]
	v_perm_b32 v18, v5, v15, s33
	v_lshlrev_b32_e32 v19, 16, v19
	v_perm_b32 v6, v11, v6, s33
	v_and_b32_e32 v11, 0xff, v12
	v_perm_b32 v7, v7, v14, s33
	v_or_b32_e32 v18, v18, v19
	v_lshlrev_b32_e32 v11, 16, v11
	v_perm_b32 v5, v15, v5, s33
	v_lshlrev_b32_e32 v7, 16, v7
	v_or_b32_e32 v6, v6, v11
	v_cndmask_b32_e64 v5, v18, v5, s[6:7]
	v_cndmask_b32_e64 v7, v19, v7, s[2:3]
	s_mov_b32 s2, 0xffff
	s_mov_b32 s3, 0x7060405
	v_and_or_b32 v5, v5, s2, v7
	v_perm_b32 v7, v6, v6, s3
	s_mov_b32 s6, 0x7050604
	v_cndmask_b32_e32 v6, v6, v7, vcc
	v_perm_b32 v7, v5, v5, s6
	s_movk_i32 s42, 0xff
	v_cndmask_b32_e64 v5, v5, v7, s[4:5]
	s_mov_b32 s4, 0x3020107
	v_perm_b32 v7, v5, v6, s4
	v_and_b32_sdwa v11, v5, s42 dst_sel:DWORD dst_unused:UNUSED_PAD src0_sel:WORD_1 src1_sel:DWORD
	v_lshlrev_b16_e32 v12, 8, v6
	v_or_b32_sdwa v11, v11, v12 dst_sel:WORD_1 dst_unused:UNUSED_PAD src0_sel:DWORD src1_sel:DWORD
	v_cndmask_b32_e64 v6, v6, v7, s[8:9]
	v_and_or_b32 v11, v5, s2, v11
	v_lshrrev_b32_e32 v7, 16, v6
	v_cndmask_b32_e64 v5, v5, v11, s[8:9]
	v_lshlrev_b16_e32 v7, 8, v7
	v_lshrrev_b16_e32 v11, 8, v6
	v_or_b32_sdwa v7, v6, v7 dst_sel:DWORD dst_unused:UNUSED_PAD src0_sel:BYTE_0 src1_sel:DWORD
	v_lshlrev_b32_e32 v11, 16, v11
	s_mov_b32 s5, 0xc0c0001
	v_or_b32_sdwa v7, v7, v11 dst_sel:DWORD dst_unused:UNUSED_PAD src0_sel:WORD_0 src1_sel:DWORD
	v_perm_b32 v11, 0, v5, s5
	s_mov_b32 s7, 0xffff0000
	v_and_or_b32 v11, v5, s7, v11
	v_cndmask_b32_e64 v5, v5, v11, s[0:1]
	v_cndmask_b32_e64 v6, v6, v7, s[14:15]
	v_lshrrev_b32_e32 v7, 16, v5
	v_perm_b32 v7, 0, v7, s5
	v_lshlrev_b32_e32 v7, 16, v7
	v_and_or_b32 v7, v5, s2, v7
	v_cndmask_b32_e64 v5, v5, v7, s[10:11]
	v_perm_b32 v7, v6, v6, s3
	v_cndmask_b32_e64 v6, v6, v7, s[18:19]
	v_perm_b32 v7, v5, v5, s6
	v_cndmask_b32_e64 v5, v5, v7, s[12:13]
	v_perm_b32 v7, v5, v6, s4
	v_and_b32_sdwa v11, v5, s42 dst_sel:DWORD dst_unused:UNUSED_PAD src0_sel:WORD_1 src1_sel:DWORD
	v_lshlrev_b16_e32 v12, 8, v6
	v_or_b32_sdwa v11, v11, v12 dst_sel:WORD_1 dst_unused:UNUSED_PAD src0_sel:DWORD src1_sel:DWORD
	v_cndmask_b32_e64 v6, v6, v7, s[20:21]
	v_and_or_b32 v11, v5, s2, v11
	v_lshrrev_b32_e32 v7, 16, v6
	v_cndmask_b32_e64 v5, v5, v11, s[20:21]
	v_lshlrev_b16_e32 v7, 8, v7
	v_lshrrev_b16_e32 v11, 8, v6
	v_or_b32_sdwa v7, v6, v7 dst_sel:DWORD dst_unused:UNUSED_PAD src0_sel:BYTE_0 src1_sel:DWORD
	v_lshlrev_b32_e32 v11, 16, v11
	v_or_b32_sdwa v7, v7, v11 dst_sel:DWORD dst_unused:UNUSED_PAD src0_sel:WORD_0 src1_sel:DWORD
	v_perm_b32 v11, 0, v5, s5
	v_and_or_b32 v11, v5, s7, v11
	v_cndmask_b32_e64 v5, v5, v11, s[16:17]
	v_cndmask_b32_e64 v6, v6, v7, s[24:25]
	v_lshrrev_b32_e32 v7, 16, v5
	v_perm_b32 v7, 0, v7, s5
	v_lshlrev_b32_e32 v7, 16, v7
	v_and_or_b32 v7, v5, s2, v7
	v_cndmask_b32_e64 v5, v5, v7, s[22:23]
	v_perm_b32 v7, v6, v6, s3
	v_cndmask_b32_e64 v6, v6, v7, s[26:27]
	v_perm_b32 v7, v5, v5, s6
	;; [unrolled: 2-line block ×3, first 2 shown]
	v_and_b32_sdwa v11, v5, s42 dst_sel:DWORD dst_unused:UNUSED_PAD src0_sel:WORD_1 src1_sel:DWORD
	v_lshlrev_b16_e32 v12, 8, v6
	v_or_b32_sdwa v11, v11, v12 dst_sel:WORD_1 dst_unused:UNUSED_PAD src0_sel:DWORD src1_sel:DWORD
	v_cndmask_b32_e64 v6, v6, v7, s[40:41]
	v_and_or_b32 v11, v5, s2, v11
	v_lshrrev_b32_e32 v7, 16, v6
	v_cndmask_b32_e64 v5, v5, v11, s[40:41]
	v_lshlrev_b16_e32 v7, 8, v7
	v_lshrrev_b16_e32 v11, 8, v6
	v_or_b32_sdwa v7, v6, v7 dst_sel:DWORD dst_unused:UNUSED_PAD src0_sel:BYTE_0 src1_sel:DWORD
	v_lshlrev_b32_e32 v11, 16, v11
	v_or_b32_sdwa v7, v7, v11 dst_sel:DWORD dst_unused:UNUSED_PAD src0_sel:WORD_0 src1_sel:DWORD
	v_perm_b32 v11, 0, v5, s5
	v_and_or_b32 v11, v5, s7, v11
	v_cndmask_b32_e64 v5, v5, v11, s[36:37]
	v_cndmask_b32_e64 v6, v6, v7, s[30:31]
	v_lshrrev_b32_e32 v7, 16, v5
	v_perm_b32 v7, 0, v7, s5
	v_add_u32_e32 v42, 1, v41
	v_lshlrev_b32_e32 v7, 16, v7
	v_cndmask_b32_e64 v38, v38, v39, s[52:53]
	v_add_u32_e32 v39, 1, v40
	v_cndmask_b32_e64 v42, v42, v41, s[52:53]
	v_and_or_b32 v7, v5, s2, v7
	v_cndmask_b32_e64 v39, v40, v39, s[52:53]
	v_cndmask_b32_e64 v5, v5, v7, s[34:35]
	v_perm_b32 v7, v6, v6, s3
	v_cmp_ge_i32_e64 s[0:1], v42, v8
	s_waitcnt lgkmcnt(0)
	v_cmp_lt_u16_e64 s[2:3], v31, v29
	v_cmp_lt_i32_e32 vcc, v39, v13
	s_or_b64 s[0:1], s[0:1], s[2:3]
	s_and_b64 vcc, vcc, s[0:1]
	v_lshrrev_b32_e32 v8, 16, v5
	s_mov_b32 s0, 0x7000504
	v_cndmask_b32_e64 v6, v6, v7, s[38:39]
	v_perm_b32 v5, v5, v8, s0
	v_cndmask_b32_e32 v7, v42, v39, vcc
	s_barrier
	ds_write_b32 v9, v5
	ds_write_b8 v9, v6 offset:4
	v_lshrrev_b32_e32 v5, 8, v6
	v_cndmask_b32_e64 v40, v41, v40, s[52:53]
	v_cndmask_b32_e64 v34, v34, v35, s[50:51]
	;; [unrolled: 1-line block ×9, first 2 shown]
	ds_write_b8 v9, v5 offset:5
	ds_write_b8_d16_hi v9, v6 offset:6
	s_waitcnt lgkmcnt(0)
	s_barrier
	ds_read_u8 v5, v16
	ds_read_u8 v6, v7
	;; [unrolled: 1-line block ×7, first 2 shown]
	s_mov_b32 s0, 0x5040100
	v_perm_b32 v16, v38, v34, s0
	v_perm_b32 v15, v28, v24, s0
	;; [unrolled: 1-line block ×3, first 2 shown]
	v_cndmask_b32_e32 v18, v29, v31, vcc
	s_waitcnt lgkmcnt(0)
	s_barrier
	ds_write_b96 v10, v[14:16]
	ds_write_b16 v10, v18 offset:12
	v_and_b32_e32 v14, 0xfc, v0
	v_mul_u32_u24_e32 v15, 7, v14
	v_and_b32_e32 v14, 3, v0
	v_min_u32_e32 v16, 0x700, v15
	v_min_u32_e32 v17, 0x6f2, v15
	;; [unrolled: 1-line block ×3, first 2 shown]
	v_mul_u32_u24_e32 v19, 7, v14
	v_add_u32_e32 v14, 14, v17
	v_add_u32_e32 v15, 28, v15
	v_sub_u32_e32 v20, v15, v14
	v_sub_u32_e32 v21, v14, v16
	;; [unrolled: 1-line block ×3, first 2 shown]
	v_cmp_ge_i32_e32 vcc, v19, v20
	v_cndmask_b32_e32 v20, 0, v22, vcc
	v_min_i32_e32 v21, v19, v21
	v_lshlrev_b32_e32 v18, 1, v16
	v_cmp_lt_i32_e32 vcc, v20, v21
	s_waitcnt lgkmcnt(0)
	s_barrier
	s_and_saveexec_b64 s[0:1], vcc
	s_cbranch_execz .LBB13_32
; %bb.29:
	v_lshlrev_b32_e32 v22, 1, v19
	v_lshl_add_u32 v22, v17, 1, v22
	s_mov_b64 s[2:3], 0
.LBB13_30:                              ; =>This Inner Loop Header: Depth=1
	v_sub_u32_e32 v23, v21, v20
	v_lshrrev_b32_e32 v23, 1, v23
	v_add_u32_e32 v23, v23, v20
	v_not_b32_e32 v25, v23
	v_lshl_add_u32 v24, v23, 1, v18
	v_lshl_add_u32 v25, v25, 1, v22
	ds_read_u16 v24, v24
	ds_read_u16 v25, v25 offset:28
	v_add_u32_e32 v26, 1, v23
	s_waitcnt lgkmcnt(0)
	v_cmp_lt_u16_e32 vcc, v25, v24
	v_cndmask_b32_e32 v21, v21, v23, vcc
	v_cndmask_b32_e32 v20, v26, v20, vcc
	v_cmp_ge_i32_e32 vcc, v20, v21
	s_or_b64 s[2:3], vcc, s[2:3]
	s_andn2_b64 exec, exec, s[2:3]
	s_cbranch_execnz .LBB13_30
; %bb.31:
	s_or_b64 exec, exec, s[2:3]
.LBB13_32:
	s_or_b64 exec, exec, s[0:1]
	v_add_u32_e32 v17, v17, v19
	v_lshl_add_u32 v21, v20, 1, v18
	v_sub_u32_e32 v17, v17, v20
	v_lshlrev_b32_e32 v22, 1, v17
	ds_read_u16 v17, v21
	ds_read_u16 v18, v22 offset:28
	v_add_u32_e32 v16, v20, v16
	v_add_u32_e32 v19, v14, v19
	v_sub_u32_e32 v19, v19, v20
	v_cmp_le_i32_e64 s[0:1], v14, v16
	s_waitcnt lgkmcnt(0)
	v_cmp_lt_u16_e64 s[2:3], v18, v17
	v_cmp_gt_i32_e32 vcc, v15, v19
	s_or_b64 s[0:1], s[0:1], s[2:3]
	s_and_b64 vcc, vcc, s[0:1]
	s_xor_b64 s[0:1], vcc, -1
                                        ; implicit-def: $vgpr20
	s_and_saveexec_b64 s[2:3], s[0:1]
	s_xor_b64 s[0:1], exec, s[2:3]
; %bb.33:
	ds_read_u16 v20, v21 offset:2
                                        ; implicit-def: $vgpr22
; %bb.34:
	s_or_saveexec_b64 s[0:1], s[0:1]
	v_mov_b32_e32 v21, v18
	s_xor_b64 exec, exec, s[0:1]
	s_cbranch_execz .LBB13_36
; %bb.35:
	ds_read_u16 v21, v22 offset:30
	s_waitcnt lgkmcnt(1)
	v_mov_b32_e32 v20, v17
.LBB13_36:
	s_or_b64 exec, exec, s[0:1]
	v_add_u32_e32 v23, 1, v16
	v_add_u32_e32 v22, 1, v19
	v_cndmask_b32_e32 v23, v23, v16, vcc
	v_cndmask_b32_e32 v22, v19, v22, vcc
	v_cmp_ge_i32_e64 s[2:3], v23, v14
	s_waitcnt lgkmcnt(0)
	v_cmp_lt_u16_e64 s[4:5], v21, v20
	v_cmp_lt_i32_e64 s[0:1], v22, v15
	s_or_b64 s[2:3], s[2:3], s[4:5]
	s_and_b64 s[0:1], s[0:1], s[2:3]
	s_xor_b64 s[2:3], s[0:1], -1
                                        ; implicit-def: $vgpr24
	s_and_saveexec_b64 s[4:5], s[2:3]
	s_xor_b64 s[2:3], exec, s[4:5]
; %bb.37:
	v_lshlrev_b32_e32 v24, 1, v23
	ds_read_u16 v24, v24 offset:2
; %bb.38:
	s_or_saveexec_b64 s[2:3], s[2:3]
	v_mov_b32_e32 v25, v21
	s_xor_b64 exec, exec, s[2:3]
	s_cbranch_execz .LBB13_40
; %bb.39:
	s_waitcnt lgkmcnt(0)
	v_lshlrev_b32_e32 v24, 1, v22
	ds_read_u16 v25, v24 offset:2
	v_mov_b32_e32 v24, v20
.LBB13_40:
	s_or_b64 exec, exec, s[2:3]
	v_add_u32_e32 v27, 1, v23
	v_add_u32_e32 v26, 1, v22
	v_cndmask_b32_e64 v27, v27, v23, s[0:1]
	v_cndmask_b32_e64 v26, v22, v26, s[0:1]
	v_cmp_ge_i32_e64 s[4:5], v27, v14
	s_waitcnt lgkmcnt(0)
	v_cmp_lt_u16_e64 s[6:7], v25, v24
	v_cmp_lt_i32_e64 s[2:3], v26, v15
	s_or_b64 s[4:5], s[4:5], s[6:7]
	s_and_b64 s[2:3], s[2:3], s[4:5]
	s_xor_b64 s[4:5], s[2:3], -1
                                        ; implicit-def: $vgpr28
	s_and_saveexec_b64 s[6:7], s[4:5]
	s_xor_b64 s[4:5], exec, s[6:7]
; %bb.41:
	v_lshlrev_b32_e32 v28, 1, v27
	ds_read_u16 v28, v28 offset:2
; %bb.42:
	s_or_saveexec_b64 s[4:5], s[4:5]
	v_mov_b32_e32 v29, v25
	s_xor_b64 exec, exec, s[4:5]
	s_cbranch_execz .LBB13_44
; %bb.43:
	s_waitcnt lgkmcnt(0)
	v_lshlrev_b32_e32 v28, 1, v26
	ds_read_u16 v29, v28 offset:2
	v_mov_b32_e32 v28, v24
.LBB13_44:
	s_or_b64 exec, exec, s[4:5]
	v_add_u32_e32 v31, 1, v27
	v_add_u32_e32 v30, 1, v26
	v_cndmask_b32_e64 v31, v31, v27, s[2:3]
	v_cndmask_b32_e64 v30, v26, v30, s[2:3]
	v_cmp_ge_i32_e64 s[6:7], v31, v14
	s_waitcnt lgkmcnt(0)
	v_cmp_lt_u16_e64 s[8:9], v29, v28
	v_cmp_lt_i32_e64 s[4:5], v30, v15
	s_or_b64 s[6:7], s[6:7], s[8:9]
	s_and_b64 s[4:5], s[4:5], s[6:7]
	s_xor_b64 s[6:7], s[4:5], -1
                                        ; implicit-def: $vgpr32
	s_and_saveexec_b64 s[8:9], s[6:7]
	s_xor_b64 s[6:7], exec, s[8:9]
; %bb.45:
	v_lshlrev_b32_e32 v32, 1, v31
	ds_read_u16 v32, v32 offset:2
; %bb.46:
	s_or_saveexec_b64 s[6:7], s[6:7]
	v_mov_b32_e32 v33, v29
	s_xor_b64 exec, exec, s[6:7]
	s_cbranch_execz .LBB13_48
; %bb.47:
	s_waitcnt lgkmcnt(0)
	v_lshlrev_b32_e32 v32, 1, v30
	ds_read_u16 v33, v32 offset:2
	v_mov_b32_e32 v32, v28
.LBB13_48:
	s_or_b64 exec, exec, s[6:7]
	v_add_u32_e32 v35, 1, v31
	v_add_u32_e32 v34, 1, v30
	v_cndmask_b32_e64 v35, v35, v31, s[4:5]
	v_cndmask_b32_e64 v34, v30, v34, s[4:5]
	v_cmp_ge_i32_e64 s[8:9], v35, v14
	s_waitcnt lgkmcnt(0)
	v_cmp_lt_u16_e64 s[10:11], v33, v32
	v_cmp_lt_i32_e64 s[6:7], v34, v15
	s_or_b64 s[8:9], s[8:9], s[10:11]
	s_and_b64 s[6:7], s[6:7], s[8:9]
	s_xor_b64 s[8:9], s[6:7], -1
                                        ; implicit-def: $vgpr36
	s_and_saveexec_b64 s[10:11], s[8:9]
	s_xor_b64 s[8:9], exec, s[10:11]
; %bb.49:
	v_lshlrev_b32_e32 v36, 1, v35
	ds_read_u16 v36, v36 offset:2
; %bb.50:
	s_or_saveexec_b64 s[8:9], s[8:9]
	v_mov_b32_e32 v37, v33
	s_xor_b64 exec, exec, s[8:9]
	s_cbranch_execz .LBB13_52
; %bb.51:
	s_waitcnt lgkmcnt(0)
	v_lshlrev_b32_e32 v36, 1, v34
	ds_read_u16 v37, v36 offset:2
	v_mov_b32_e32 v36, v32
.LBB13_52:
	s_or_b64 exec, exec, s[8:9]
	v_add_u32_e32 v40, 1, v35
	v_add_u32_e32 v38, 1, v34
	v_cndmask_b32_e64 v40, v40, v35, s[6:7]
	v_cndmask_b32_e64 v39, v34, v38, s[6:7]
	v_cmp_ge_i32_e64 s[10:11], v40, v14
	s_waitcnt lgkmcnt(0)
	v_cmp_lt_u16_e64 s[12:13], v37, v36
	v_cmp_lt_i32_e64 s[8:9], v39, v15
	s_or_b64 s[10:11], s[10:11], s[12:13]
	s_and_b64 s[8:9], s[8:9], s[10:11]
	s_xor_b64 s[10:11], s[8:9], -1
                                        ; implicit-def: $vgpr38
	s_and_saveexec_b64 s[12:13], s[10:11]
	s_xor_b64 s[10:11], exec, s[12:13]
; %bb.53:
	v_lshlrev_b32_e32 v38, 1, v40
	ds_read_u16 v38, v38 offset:2
; %bb.54:
	s_or_saveexec_b64 s[10:11], s[10:11]
	v_mov_b32_e32 v41, v37
	s_xor_b64 exec, exec, s[10:11]
	s_cbranch_execz .LBB13_56
; %bb.55:
	s_waitcnt lgkmcnt(0)
	v_lshlrev_b32_e32 v38, 1, v39
	ds_read_u16 v41, v38 offset:2
	v_mov_b32_e32 v38, v36
.LBB13_56:
	s_or_b64 exec, exec, s[10:11]
	v_add_u32_e32 v42, 1, v40
	v_cndmask_b32_e64 v36, v36, v37, s[8:9]
	v_add_u32_e32 v37, 1, v39
	v_cndmask_b32_e64 v42, v42, v40, s[8:9]
	v_cndmask_b32_e64 v37, v39, v37, s[8:9]
	v_cndmask_b32_e64 v24, v24, v25, s[2:3]
	v_cndmask_b32_e64 v25, v27, v26, s[2:3]
	v_cndmask_b32_e64 v20, v20, v21, s[0:1]
	v_cndmask_b32_e64 v21, v23, v22, s[0:1]
	v_cmp_ge_i32_e64 s[0:1], v42, v14
	s_waitcnt lgkmcnt(0)
	v_cmp_lt_u16_e64 s[2:3], v41, v38
	v_cndmask_b32_e32 v17, v17, v18, vcc
	v_cndmask_b32_e32 v16, v16, v19, vcc
	v_cmp_lt_i32_e32 vcc, v37, v15
	s_or_b64 s[0:1], s[0:1], s[2:3]
	s_and_b64 vcc, vcc, s[0:1]
	v_cndmask_b32_e64 v39, v40, v39, s[8:9]
	v_cndmask_b32_e64 v32, v32, v33, s[6:7]
	;; [unrolled: 1-line block ×5, first 2 shown]
	v_cndmask_b32_e32 v14, v42, v37, vcc
	s_barrier
	ds_write_b8 v9, v5
	ds_write_b8 v9, v7 offset:1
	ds_write_b8 v9, v8 offset:2
	;; [unrolled: 1-line block ×6, first 2 shown]
	s_waitcnt lgkmcnt(0)
	s_barrier
	ds_read_u8 v5, v16
	ds_read_u8 v6, v14
	;; [unrolled: 1-line block ×7, first 2 shown]
	s_mov_b32 s0, 0x5040100
	v_perm_b32 v16, v36, v32, s0
	v_perm_b32 v15, v28, v24, s0
	;; [unrolled: 1-line block ×3, first 2 shown]
	v_cndmask_b32_e32 v18, v38, v41, vcc
	s_waitcnt lgkmcnt(0)
	s_barrier
	ds_write_b96 v10, v[14:16]
	ds_write_b16 v10, v18 offset:12
	v_and_b32_e32 v14, 0xf8, v0
	v_mul_u32_u24_e32 v15, 7, v14
	v_and_b32_e32 v14, 7, v0
	v_min_u32_e32 v16, 0x700, v15
	v_min_u32_e32 v17, 0x6e4, v15
	;; [unrolled: 1-line block ×3, first 2 shown]
	v_mul_u32_u24_e32 v19, 7, v14
	v_add_u32_e32 v14, 28, v17
	v_add_u32_e32 v15, 56, v15
	v_sub_u32_e32 v20, v15, v14
	v_sub_u32_e32 v21, v14, v16
	;; [unrolled: 1-line block ×3, first 2 shown]
	v_cmp_ge_i32_e32 vcc, v19, v20
	v_cndmask_b32_e32 v20, 0, v22, vcc
	v_min_i32_e32 v21, v19, v21
	v_lshlrev_b32_e32 v18, 1, v16
	v_cmp_lt_i32_e32 vcc, v20, v21
	s_waitcnt lgkmcnt(0)
	s_barrier
	s_and_saveexec_b64 s[0:1], vcc
	s_cbranch_execz .LBB13_60
; %bb.57:
	v_lshlrev_b32_e32 v22, 1, v19
	v_lshl_add_u32 v22, v17, 1, v22
	s_mov_b64 s[2:3], 0
.LBB13_58:                              ; =>This Inner Loop Header: Depth=1
	v_sub_u32_e32 v23, v21, v20
	v_lshrrev_b32_e32 v23, 1, v23
	v_add_u32_e32 v23, v23, v20
	v_not_b32_e32 v25, v23
	v_lshl_add_u32 v24, v23, 1, v18
	v_lshl_add_u32 v25, v25, 1, v22
	ds_read_u16 v24, v24
	ds_read_u16 v25, v25 offset:56
	v_add_u32_e32 v26, 1, v23
	s_waitcnt lgkmcnt(0)
	v_cmp_lt_u16_e32 vcc, v25, v24
	v_cndmask_b32_e32 v21, v21, v23, vcc
	v_cndmask_b32_e32 v20, v26, v20, vcc
	v_cmp_ge_i32_e32 vcc, v20, v21
	s_or_b64 s[2:3], vcc, s[2:3]
	s_andn2_b64 exec, exec, s[2:3]
	s_cbranch_execnz .LBB13_58
; %bb.59:
	s_or_b64 exec, exec, s[2:3]
.LBB13_60:
	s_or_b64 exec, exec, s[0:1]
	v_add_u32_e32 v17, v17, v19
	v_lshl_add_u32 v21, v20, 1, v18
	v_sub_u32_e32 v17, v17, v20
	v_lshlrev_b32_e32 v22, 1, v17
	ds_read_u16 v17, v21
	ds_read_u16 v18, v22 offset:56
	v_add_u32_e32 v16, v20, v16
	v_add_u32_e32 v19, v14, v19
	v_sub_u32_e32 v19, v19, v20
	v_cmp_le_i32_e64 s[0:1], v14, v16
	s_waitcnt lgkmcnt(0)
	v_cmp_lt_u16_e64 s[2:3], v18, v17
	v_cmp_gt_i32_e32 vcc, v15, v19
	s_or_b64 s[0:1], s[0:1], s[2:3]
	s_and_b64 vcc, vcc, s[0:1]
	s_xor_b64 s[0:1], vcc, -1
                                        ; implicit-def: $vgpr20
	s_and_saveexec_b64 s[2:3], s[0:1]
	s_xor_b64 s[0:1], exec, s[2:3]
; %bb.61:
	ds_read_u16 v20, v21 offset:2
                                        ; implicit-def: $vgpr22
; %bb.62:
	s_or_saveexec_b64 s[0:1], s[0:1]
	v_mov_b32_e32 v21, v18
	s_xor_b64 exec, exec, s[0:1]
	s_cbranch_execz .LBB13_64
; %bb.63:
	ds_read_u16 v21, v22 offset:58
	s_waitcnt lgkmcnt(1)
	v_mov_b32_e32 v20, v17
.LBB13_64:
	s_or_b64 exec, exec, s[0:1]
	v_add_u32_e32 v23, 1, v16
	v_add_u32_e32 v22, 1, v19
	v_cndmask_b32_e32 v23, v23, v16, vcc
	v_cndmask_b32_e32 v22, v19, v22, vcc
	v_cmp_ge_i32_e64 s[2:3], v23, v14
	s_waitcnt lgkmcnt(0)
	v_cmp_lt_u16_e64 s[4:5], v21, v20
	v_cmp_lt_i32_e64 s[0:1], v22, v15
	s_or_b64 s[2:3], s[2:3], s[4:5]
	s_and_b64 s[0:1], s[0:1], s[2:3]
	s_xor_b64 s[2:3], s[0:1], -1
                                        ; implicit-def: $vgpr24
	s_and_saveexec_b64 s[4:5], s[2:3]
	s_xor_b64 s[2:3], exec, s[4:5]
; %bb.65:
	v_lshlrev_b32_e32 v24, 1, v23
	ds_read_u16 v24, v24 offset:2
; %bb.66:
	s_or_saveexec_b64 s[2:3], s[2:3]
	v_mov_b32_e32 v25, v21
	s_xor_b64 exec, exec, s[2:3]
	s_cbranch_execz .LBB13_68
; %bb.67:
	s_waitcnt lgkmcnt(0)
	v_lshlrev_b32_e32 v24, 1, v22
	ds_read_u16 v25, v24 offset:2
	v_mov_b32_e32 v24, v20
.LBB13_68:
	s_or_b64 exec, exec, s[2:3]
	v_add_u32_e32 v27, 1, v23
	v_add_u32_e32 v26, 1, v22
	v_cndmask_b32_e64 v27, v27, v23, s[0:1]
	v_cndmask_b32_e64 v26, v22, v26, s[0:1]
	v_cmp_ge_i32_e64 s[4:5], v27, v14
	s_waitcnt lgkmcnt(0)
	v_cmp_lt_u16_e64 s[6:7], v25, v24
	v_cmp_lt_i32_e64 s[2:3], v26, v15
	s_or_b64 s[4:5], s[4:5], s[6:7]
	s_and_b64 s[2:3], s[2:3], s[4:5]
	s_xor_b64 s[4:5], s[2:3], -1
                                        ; implicit-def: $vgpr28
	s_and_saveexec_b64 s[6:7], s[4:5]
	s_xor_b64 s[4:5], exec, s[6:7]
; %bb.69:
	v_lshlrev_b32_e32 v28, 1, v27
	ds_read_u16 v28, v28 offset:2
; %bb.70:
	s_or_saveexec_b64 s[4:5], s[4:5]
	v_mov_b32_e32 v29, v25
	s_xor_b64 exec, exec, s[4:5]
	s_cbranch_execz .LBB13_72
; %bb.71:
	s_waitcnt lgkmcnt(0)
	v_lshlrev_b32_e32 v28, 1, v26
	ds_read_u16 v29, v28 offset:2
	v_mov_b32_e32 v28, v24
.LBB13_72:
	s_or_b64 exec, exec, s[4:5]
	v_add_u32_e32 v31, 1, v27
	v_add_u32_e32 v30, 1, v26
	v_cndmask_b32_e64 v31, v31, v27, s[2:3]
	v_cndmask_b32_e64 v30, v26, v30, s[2:3]
	v_cmp_ge_i32_e64 s[6:7], v31, v14
	s_waitcnt lgkmcnt(0)
	v_cmp_lt_u16_e64 s[8:9], v29, v28
	v_cmp_lt_i32_e64 s[4:5], v30, v15
	s_or_b64 s[6:7], s[6:7], s[8:9]
	s_and_b64 s[4:5], s[4:5], s[6:7]
	s_xor_b64 s[6:7], s[4:5], -1
                                        ; implicit-def: $vgpr32
	s_and_saveexec_b64 s[8:9], s[6:7]
	s_xor_b64 s[6:7], exec, s[8:9]
; %bb.73:
	v_lshlrev_b32_e32 v32, 1, v31
	ds_read_u16 v32, v32 offset:2
; %bb.74:
	s_or_saveexec_b64 s[6:7], s[6:7]
	v_mov_b32_e32 v33, v29
	s_xor_b64 exec, exec, s[6:7]
	s_cbranch_execz .LBB13_76
; %bb.75:
	s_waitcnt lgkmcnt(0)
	v_lshlrev_b32_e32 v32, 1, v30
	ds_read_u16 v33, v32 offset:2
	v_mov_b32_e32 v32, v28
.LBB13_76:
	s_or_b64 exec, exec, s[6:7]
	v_add_u32_e32 v35, 1, v31
	v_add_u32_e32 v34, 1, v30
	v_cndmask_b32_e64 v35, v35, v31, s[4:5]
	v_cndmask_b32_e64 v34, v30, v34, s[4:5]
	v_cmp_ge_i32_e64 s[8:9], v35, v14
	s_waitcnt lgkmcnt(0)
	v_cmp_lt_u16_e64 s[10:11], v33, v32
	v_cmp_lt_i32_e64 s[6:7], v34, v15
	s_or_b64 s[8:9], s[8:9], s[10:11]
	s_and_b64 s[6:7], s[6:7], s[8:9]
	s_xor_b64 s[8:9], s[6:7], -1
                                        ; implicit-def: $vgpr36
	s_and_saveexec_b64 s[10:11], s[8:9]
	s_xor_b64 s[8:9], exec, s[10:11]
; %bb.77:
	v_lshlrev_b32_e32 v36, 1, v35
	ds_read_u16 v36, v36 offset:2
; %bb.78:
	s_or_saveexec_b64 s[8:9], s[8:9]
	v_mov_b32_e32 v37, v33
	s_xor_b64 exec, exec, s[8:9]
	s_cbranch_execz .LBB13_80
; %bb.79:
	s_waitcnt lgkmcnt(0)
	v_lshlrev_b32_e32 v36, 1, v34
	ds_read_u16 v37, v36 offset:2
	v_mov_b32_e32 v36, v32
.LBB13_80:
	s_or_b64 exec, exec, s[8:9]
	v_add_u32_e32 v40, 1, v35
	v_add_u32_e32 v38, 1, v34
	v_cndmask_b32_e64 v40, v40, v35, s[6:7]
	v_cndmask_b32_e64 v39, v34, v38, s[6:7]
	v_cmp_ge_i32_e64 s[10:11], v40, v14
	s_waitcnt lgkmcnt(0)
	v_cmp_lt_u16_e64 s[12:13], v37, v36
	v_cmp_lt_i32_e64 s[8:9], v39, v15
	s_or_b64 s[10:11], s[10:11], s[12:13]
	s_and_b64 s[8:9], s[8:9], s[10:11]
	s_xor_b64 s[10:11], s[8:9], -1
                                        ; implicit-def: $vgpr38
	s_and_saveexec_b64 s[12:13], s[10:11]
	s_xor_b64 s[10:11], exec, s[12:13]
; %bb.81:
	v_lshlrev_b32_e32 v38, 1, v40
	ds_read_u16 v38, v38 offset:2
; %bb.82:
	s_or_saveexec_b64 s[10:11], s[10:11]
	v_mov_b32_e32 v41, v37
	s_xor_b64 exec, exec, s[10:11]
	s_cbranch_execz .LBB13_84
; %bb.83:
	s_waitcnt lgkmcnt(0)
	v_lshlrev_b32_e32 v38, 1, v39
	ds_read_u16 v41, v38 offset:2
	v_mov_b32_e32 v38, v36
.LBB13_84:
	s_or_b64 exec, exec, s[10:11]
	v_add_u32_e32 v42, 1, v40
	v_cndmask_b32_e64 v36, v36, v37, s[8:9]
	v_add_u32_e32 v37, 1, v39
	v_cndmask_b32_e64 v42, v42, v40, s[8:9]
	v_cndmask_b32_e64 v37, v39, v37, s[8:9]
	;; [unrolled: 1-line block ×6, first 2 shown]
	v_cmp_ge_i32_e64 s[0:1], v42, v14
	s_waitcnt lgkmcnt(0)
	v_cmp_lt_u16_e64 s[2:3], v41, v38
	v_cndmask_b32_e32 v17, v17, v18, vcc
	v_cndmask_b32_e32 v16, v16, v19, vcc
	v_cmp_lt_i32_e32 vcc, v37, v15
	s_or_b64 s[0:1], s[0:1], s[2:3]
	s_and_b64 vcc, vcc, s[0:1]
	v_cndmask_b32_e64 v39, v40, v39, s[8:9]
	v_cndmask_b32_e64 v32, v32, v33, s[6:7]
	;; [unrolled: 1-line block ×5, first 2 shown]
	v_cndmask_b32_e32 v14, v42, v37, vcc
	s_barrier
	ds_write_b8 v9, v5
	ds_write_b8 v9, v7 offset:1
	ds_write_b8 v9, v8 offset:2
	;; [unrolled: 1-line block ×6, first 2 shown]
	s_waitcnt lgkmcnt(0)
	s_barrier
	ds_read_u8 v5, v16
	ds_read_u8 v6, v14
	;; [unrolled: 1-line block ×7, first 2 shown]
	s_mov_b32 s0, 0x5040100
	v_perm_b32 v16, v36, v32, s0
	v_perm_b32 v15, v28, v24, s0
	;; [unrolled: 1-line block ×3, first 2 shown]
	v_cndmask_b32_e32 v18, v38, v41, vcc
	s_waitcnt lgkmcnt(0)
	s_barrier
	ds_write_b96 v10, v[14:16]
	ds_write_b16 v10, v18 offset:12
	v_and_b32_e32 v14, 0xf0, v0
	v_mul_u32_u24_e32 v15, 7, v14
	v_and_b32_e32 v14, 15, v0
	v_min_u32_e32 v16, 0x700, v15
	v_min_u32_e32 v17, 0x6c8, v15
	;; [unrolled: 1-line block ×3, first 2 shown]
	v_mul_u32_u24_e32 v19, 7, v14
	v_add_u32_e32 v14, 56, v17
	v_add_u32_e32 v15, 0x70, v15
	v_sub_u32_e32 v20, v15, v14
	v_sub_u32_e32 v21, v14, v16
	;; [unrolled: 1-line block ×3, first 2 shown]
	v_cmp_ge_i32_e32 vcc, v19, v20
	v_cndmask_b32_e32 v20, 0, v22, vcc
	v_min_i32_e32 v21, v19, v21
	v_lshlrev_b32_e32 v18, 1, v16
	v_cmp_lt_i32_e32 vcc, v20, v21
	s_waitcnt lgkmcnt(0)
	s_barrier
	s_and_saveexec_b64 s[0:1], vcc
	s_cbranch_execz .LBB13_88
; %bb.85:
	v_lshlrev_b32_e32 v22, 1, v19
	v_lshl_add_u32 v22, v17, 1, v22
	s_mov_b64 s[2:3], 0
.LBB13_86:                              ; =>This Inner Loop Header: Depth=1
	v_sub_u32_e32 v23, v21, v20
	v_lshrrev_b32_e32 v23, 1, v23
	v_add_u32_e32 v23, v23, v20
	v_not_b32_e32 v25, v23
	v_lshl_add_u32 v24, v23, 1, v18
	v_lshl_add_u32 v25, v25, 1, v22
	ds_read_u16 v24, v24
	ds_read_u16 v25, v25 offset:112
	v_add_u32_e32 v26, 1, v23
	s_waitcnt lgkmcnt(0)
	v_cmp_lt_u16_e32 vcc, v25, v24
	v_cndmask_b32_e32 v21, v21, v23, vcc
	v_cndmask_b32_e32 v20, v26, v20, vcc
	v_cmp_ge_i32_e32 vcc, v20, v21
	s_or_b64 s[2:3], vcc, s[2:3]
	s_andn2_b64 exec, exec, s[2:3]
	s_cbranch_execnz .LBB13_86
; %bb.87:
	s_or_b64 exec, exec, s[2:3]
.LBB13_88:
	s_or_b64 exec, exec, s[0:1]
	v_add_u32_e32 v17, v17, v19
	v_lshl_add_u32 v21, v20, 1, v18
	v_sub_u32_e32 v17, v17, v20
	v_lshlrev_b32_e32 v22, 1, v17
	ds_read_u16 v17, v21
	ds_read_u16 v18, v22 offset:112
	v_add_u32_e32 v16, v20, v16
	v_add_u32_e32 v19, v14, v19
	v_sub_u32_e32 v19, v19, v20
	v_cmp_le_i32_e64 s[0:1], v14, v16
	s_waitcnt lgkmcnt(0)
	v_cmp_lt_u16_e64 s[2:3], v18, v17
	v_cmp_gt_i32_e32 vcc, v15, v19
	s_or_b64 s[0:1], s[0:1], s[2:3]
	s_and_b64 vcc, vcc, s[0:1]
	s_xor_b64 s[0:1], vcc, -1
                                        ; implicit-def: $vgpr20
	s_and_saveexec_b64 s[2:3], s[0:1]
	s_xor_b64 s[0:1], exec, s[2:3]
; %bb.89:
	ds_read_u16 v20, v21 offset:2
                                        ; implicit-def: $vgpr22
; %bb.90:
	s_or_saveexec_b64 s[0:1], s[0:1]
	v_mov_b32_e32 v21, v18
	s_xor_b64 exec, exec, s[0:1]
	s_cbranch_execz .LBB13_92
; %bb.91:
	ds_read_u16 v21, v22 offset:114
	s_waitcnt lgkmcnt(1)
	v_mov_b32_e32 v20, v17
.LBB13_92:
	s_or_b64 exec, exec, s[0:1]
	v_add_u32_e32 v23, 1, v16
	v_add_u32_e32 v22, 1, v19
	v_cndmask_b32_e32 v23, v23, v16, vcc
	v_cndmask_b32_e32 v22, v19, v22, vcc
	v_cmp_ge_i32_e64 s[2:3], v23, v14
	s_waitcnt lgkmcnt(0)
	v_cmp_lt_u16_e64 s[4:5], v21, v20
	v_cmp_lt_i32_e64 s[0:1], v22, v15
	s_or_b64 s[2:3], s[2:3], s[4:5]
	s_and_b64 s[0:1], s[0:1], s[2:3]
	s_xor_b64 s[2:3], s[0:1], -1
                                        ; implicit-def: $vgpr24
	s_and_saveexec_b64 s[4:5], s[2:3]
	s_xor_b64 s[2:3], exec, s[4:5]
; %bb.93:
	v_lshlrev_b32_e32 v24, 1, v23
	ds_read_u16 v24, v24 offset:2
; %bb.94:
	s_or_saveexec_b64 s[2:3], s[2:3]
	v_mov_b32_e32 v25, v21
	s_xor_b64 exec, exec, s[2:3]
	s_cbranch_execz .LBB13_96
; %bb.95:
	s_waitcnt lgkmcnt(0)
	v_lshlrev_b32_e32 v24, 1, v22
	ds_read_u16 v25, v24 offset:2
	v_mov_b32_e32 v24, v20
.LBB13_96:
	s_or_b64 exec, exec, s[2:3]
	v_add_u32_e32 v27, 1, v23
	v_add_u32_e32 v26, 1, v22
	v_cndmask_b32_e64 v27, v27, v23, s[0:1]
	v_cndmask_b32_e64 v26, v22, v26, s[0:1]
	v_cmp_ge_i32_e64 s[4:5], v27, v14
	s_waitcnt lgkmcnt(0)
	v_cmp_lt_u16_e64 s[6:7], v25, v24
	v_cmp_lt_i32_e64 s[2:3], v26, v15
	s_or_b64 s[4:5], s[4:5], s[6:7]
	s_and_b64 s[2:3], s[2:3], s[4:5]
	s_xor_b64 s[4:5], s[2:3], -1
                                        ; implicit-def: $vgpr28
	s_and_saveexec_b64 s[6:7], s[4:5]
	s_xor_b64 s[4:5], exec, s[6:7]
; %bb.97:
	v_lshlrev_b32_e32 v28, 1, v27
	ds_read_u16 v28, v28 offset:2
; %bb.98:
	s_or_saveexec_b64 s[4:5], s[4:5]
	v_mov_b32_e32 v29, v25
	s_xor_b64 exec, exec, s[4:5]
	s_cbranch_execz .LBB13_100
; %bb.99:
	s_waitcnt lgkmcnt(0)
	v_lshlrev_b32_e32 v28, 1, v26
	ds_read_u16 v29, v28 offset:2
	v_mov_b32_e32 v28, v24
.LBB13_100:
	s_or_b64 exec, exec, s[4:5]
	v_add_u32_e32 v31, 1, v27
	v_add_u32_e32 v30, 1, v26
	v_cndmask_b32_e64 v31, v31, v27, s[2:3]
	v_cndmask_b32_e64 v30, v26, v30, s[2:3]
	v_cmp_ge_i32_e64 s[6:7], v31, v14
	s_waitcnt lgkmcnt(0)
	v_cmp_lt_u16_e64 s[8:9], v29, v28
	v_cmp_lt_i32_e64 s[4:5], v30, v15
	s_or_b64 s[6:7], s[6:7], s[8:9]
	s_and_b64 s[4:5], s[4:5], s[6:7]
	s_xor_b64 s[6:7], s[4:5], -1
                                        ; implicit-def: $vgpr32
	s_and_saveexec_b64 s[8:9], s[6:7]
	s_xor_b64 s[6:7], exec, s[8:9]
; %bb.101:
	v_lshlrev_b32_e32 v32, 1, v31
	ds_read_u16 v32, v32 offset:2
; %bb.102:
	s_or_saveexec_b64 s[6:7], s[6:7]
	v_mov_b32_e32 v33, v29
	s_xor_b64 exec, exec, s[6:7]
	s_cbranch_execz .LBB13_104
; %bb.103:
	s_waitcnt lgkmcnt(0)
	v_lshlrev_b32_e32 v32, 1, v30
	ds_read_u16 v33, v32 offset:2
	v_mov_b32_e32 v32, v28
.LBB13_104:
	s_or_b64 exec, exec, s[6:7]
	v_add_u32_e32 v35, 1, v31
	v_add_u32_e32 v34, 1, v30
	v_cndmask_b32_e64 v35, v35, v31, s[4:5]
	v_cndmask_b32_e64 v34, v30, v34, s[4:5]
	v_cmp_ge_i32_e64 s[8:9], v35, v14
	s_waitcnt lgkmcnt(0)
	v_cmp_lt_u16_e64 s[10:11], v33, v32
	v_cmp_lt_i32_e64 s[6:7], v34, v15
	s_or_b64 s[8:9], s[8:9], s[10:11]
	s_and_b64 s[6:7], s[6:7], s[8:9]
	s_xor_b64 s[8:9], s[6:7], -1
                                        ; implicit-def: $vgpr36
	s_and_saveexec_b64 s[10:11], s[8:9]
	s_xor_b64 s[8:9], exec, s[10:11]
; %bb.105:
	v_lshlrev_b32_e32 v36, 1, v35
	ds_read_u16 v36, v36 offset:2
; %bb.106:
	s_or_saveexec_b64 s[8:9], s[8:9]
	v_mov_b32_e32 v37, v33
	s_xor_b64 exec, exec, s[8:9]
	s_cbranch_execz .LBB13_108
; %bb.107:
	s_waitcnt lgkmcnt(0)
	v_lshlrev_b32_e32 v36, 1, v34
	ds_read_u16 v37, v36 offset:2
	v_mov_b32_e32 v36, v32
.LBB13_108:
	s_or_b64 exec, exec, s[8:9]
	v_add_u32_e32 v40, 1, v35
	v_add_u32_e32 v38, 1, v34
	v_cndmask_b32_e64 v40, v40, v35, s[6:7]
	v_cndmask_b32_e64 v39, v34, v38, s[6:7]
	v_cmp_ge_i32_e64 s[10:11], v40, v14
	s_waitcnt lgkmcnt(0)
	v_cmp_lt_u16_e64 s[12:13], v37, v36
	v_cmp_lt_i32_e64 s[8:9], v39, v15
	s_or_b64 s[10:11], s[10:11], s[12:13]
	s_and_b64 s[8:9], s[8:9], s[10:11]
	s_xor_b64 s[10:11], s[8:9], -1
                                        ; implicit-def: $vgpr38
	s_and_saveexec_b64 s[12:13], s[10:11]
	s_xor_b64 s[10:11], exec, s[12:13]
; %bb.109:
	v_lshlrev_b32_e32 v38, 1, v40
	ds_read_u16 v38, v38 offset:2
; %bb.110:
	s_or_saveexec_b64 s[10:11], s[10:11]
	v_mov_b32_e32 v41, v37
	s_xor_b64 exec, exec, s[10:11]
	s_cbranch_execz .LBB13_112
; %bb.111:
	s_waitcnt lgkmcnt(0)
	v_lshlrev_b32_e32 v38, 1, v39
	ds_read_u16 v41, v38 offset:2
	v_mov_b32_e32 v38, v36
.LBB13_112:
	s_or_b64 exec, exec, s[10:11]
	v_add_u32_e32 v42, 1, v40
	v_cndmask_b32_e64 v36, v36, v37, s[8:9]
	v_add_u32_e32 v37, 1, v39
	v_cndmask_b32_e64 v42, v42, v40, s[8:9]
	v_cndmask_b32_e64 v37, v39, v37, s[8:9]
	;; [unrolled: 1-line block ×6, first 2 shown]
	v_cmp_ge_i32_e64 s[0:1], v42, v14
	s_waitcnt lgkmcnt(0)
	v_cmp_lt_u16_e64 s[2:3], v41, v38
	v_cndmask_b32_e32 v17, v17, v18, vcc
	v_cndmask_b32_e32 v16, v16, v19, vcc
	v_cmp_lt_i32_e32 vcc, v37, v15
	s_or_b64 s[0:1], s[0:1], s[2:3]
	s_and_b64 vcc, vcc, s[0:1]
	v_cndmask_b32_e64 v39, v40, v39, s[8:9]
	v_cndmask_b32_e64 v32, v32, v33, s[6:7]
	;; [unrolled: 1-line block ×5, first 2 shown]
	v_cndmask_b32_e32 v14, v42, v37, vcc
	s_barrier
	ds_write_b8 v9, v5
	ds_write_b8 v9, v7 offset:1
	ds_write_b8 v9, v8 offset:2
	;; [unrolled: 1-line block ×6, first 2 shown]
	s_waitcnt lgkmcnt(0)
	s_barrier
	ds_read_u8 v5, v16
	ds_read_u8 v6, v14
	ds_read_u8 v7, v21
	ds_read_u8 v8, v25
	ds_read_u8 v11, v29
	ds_read_u8 v12, v33
	ds_read_u8 v13, v39
	s_mov_b32 s0, 0x5040100
	v_perm_b32 v16, v36, v32, s0
	v_perm_b32 v15, v28, v24, s0
	;; [unrolled: 1-line block ×3, first 2 shown]
	v_cndmask_b32_e32 v18, v38, v41, vcc
	s_waitcnt lgkmcnt(0)
	s_barrier
	ds_write_b96 v10, v[14:16]
	ds_write_b16 v10, v18 offset:12
	v_and_b32_e32 v14, 0xe0, v0
	v_mul_u32_u24_e32 v15, 7, v14
	v_and_b32_e32 v14, 31, v0
	v_min_u32_e32 v16, 0x700, v15
	v_min_u32_e32 v17, 0x690, v15
	;; [unrolled: 1-line block ×3, first 2 shown]
	v_mul_u32_u24_e32 v19, 7, v14
	v_add_u32_e32 v14, 0x70, v17
	v_add_u32_e32 v15, 0xe0, v15
	v_sub_u32_e32 v20, v15, v14
	v_sub_u32_e32 v21, v14, v16
	;; [unrolled: 1-line block ×3, first 2 shown]
	v_cmp_ge_i32_e32 vcc, v19, v20
	v_cndmask_b32_e32 v20, 0, v22, vcc
	v_min_i32_e32 v21, v19, v21
	v_lshlrev_b32_e32 v18, 1, v16
	v_cmp_lt_i32_e32 vcc, v20, v21
	s_waitcnt lgkmcnt(0)
	s_barrier
	s_and_saveexec_b64 s[0:1], vcc
	s_cbranch_execz .LBB13_116
; %bb.113:
	v_lshlrev_b32_e32 v22, 1, v19
	v_lshl_add_u32 v22, v17, 1, v22
	s_mov_b64 s[2:3], 0
.LBB13_114:                             ; =>This Inner Loop Header: Depth=1
	v_sub_u32_e32 v23, v21, v20
	v_lshrrev_b32_e32 v23, 1, v23
	v_add_u32_e32 v23, v23, v20
	v_not_b32_e32 v25, v23
	v_lshl_add_u32 v24, v23, 1, v18
	v_lshl_add_u32 v25, v25, 1, v22
	ds_read_u16 v24, v24
	ds_read_u16 v25, v25 offset:224
	v_add_u32_e32 v26, 1, v23
	s_waitcnt lgkmcnt(0)
	v_cmp_lt_u16_e32 vcc, v25, v24
	v_cndmask_b32_e32 v21, v21, v23, vcc
	v_cndmask_b32_e32 v20, v26, v20, vcc
	v_cmp_ge_i32_e32 vcc, v20, v21
	s_or_b64 s[2:3], vcc, s[2:3]
	s_andn2_b64 exec, exec, s[2:3]
	s_cbranch_execnz .LBB13_114
; %bb.115:
	s_or_b64 exec, exec, s[2:3]
.LBB13_116:
	s_or_b64 exec, exec, s[0:1]
	v_add_u32_e32 v17, v17, v19
	v_lshl_add_u32 v21, v20, 1, v18
	v_sub_u32_e32 v17, v17, v20
	v_lshlrev_b32_e32 v22, 1, v17
	ds_read_u16 v17, v21
	ds_read_u16 v18, v22 offset:224
	v_add_u32_e32 v16, v20, v16
	v_add_u32_e32 v19, v14, v19
	v_sub_u32_e32 v19, v19, v20
	v_cmp_le_i32_e64 s[0:1], v14, v16
	s_waitcnt lgkmcnt(0)
	v_cmp_lt_u16_e64 s[2:3], v18, v17
	v_cmp_gt_i32_e32 vcc, v15, v19
	s_or_b64 s[0:1], s[0:1], s[2:3]
	s_and_b64 vcc, vcc, s[0:1]
	s_xor_b64 s[0:1], vcc, -1
                                        ; implicit-def: $vgpr20
	s_and_saveexec_b64 s[2:3], s[0:1]
	s_xor_b64 s[0:1], exec, s[2:3]
; %bb.117:
	ds_read_u16 v20, v21 offset:2
                                        ; implicit-def: $vgpr22
; %bb.118:
	s_or_saveexec_b64 s[0:1], s[0:1]
	v_mov_b32_e32 v21, v18
	s_xor_b64 exec, exec, s[0:1]
	s_cbranch_execz .LBB13_120
; %bb.119:
	ds_read_u16 v21, v22 offset:226
	s_waitcnt lgkmcnt(1)
	v_mov_b32_e32 v20, v17
.LBB13_120:
	s_or_b64 exec, exec, s[0:1]
	v_add_u32_e32 v23, 1, v16
	v_add_u32_e32 v22, 1, v19
	v_cndmask_b32_e32 v23, v23, v16, vcc
	v_cndmask_b32_e32 v22, v19, v22, vcc
	v_cmp_ge_i32_e64 s[2:3], v23, v14
	s_waitcnt lgkmcnt(0)
	v_cmp_lt_u16_e64 s[4:5], v21, v20
	v_cmp_lt_i32_e64 s[0:1], v22, v15
	s_or_b64 s[2:3], s[2:3], s[4:5]
	s_and_b64 s[0:1], s[0:1], s[2:3]
	s_xor_b64 s[2:3], s[0:1], -1
                                        ; implicit-def: $vgpr24
	s_and_saveexec_b64 s[4:5], s[2:3]
	s_xor_b64 s[2:3], exec, s[4:5]
; %bb.121:
	v_lshlrev_b32_e32 v24, 1, v23
	ds_read_u16 v24, v24 offset:2
; %bb.122:
	s_or_saveexec_b64 s[2:3], s[2:3]
	v_mov_b32_e32 v25, v21
	s_xor_b64 exec, exec, s[2:3]
	s_cbranch_execz .LBB13_124
; %bb.123:
	s_waitcnt lgkmcnt(0)
	v_lshlrev_b32_e32 v24, 1, v22
	ds_read_u16 v25, v24 offset:2
	v_mov_b32_e32 v24, v20
.LBB13_124:
	s_or_b64 exec, exec, s[2:3]
	v_add_u32_e32 v27, 1, v23
	v_add_u32_e32 v26, 1, v22
	v_cndmask_b32_e64 v27, v27, v23, s[0:1]
	v_cndmask_b32_e64 v26, v22, v26, s[0:1]
	v_cmp_ge_i32_e64 s[4:5], v27, v14
	s_waitcnt lgkmcnt(0)
	v_cmp_lt_u16_e64 s[6:7], v25, v24
	v_cmp_lt_i32_e64 s[2:3], v26, v15
	s_or_b64 s[4:5], s[4:5], s[6:7]
	s_and_b64 s[2:3], s[2:3], s[4:5]
	s_xor_b64 s[4:5], s[2:3], -1
                                        ; implicit-def: $vgpr28
	s_and_saveexec_b64 s[6:7], s[4:5]
	s_xor_b64 s[4:5], exec, s[6:7]
; %bb.125:
	v_lshlrev_b32_e32 v28, 1, v27
	ds_read_u16 v28, v28 offset:2
; %bb.126:
	s_or_saveexec_b64 s[4:5], s[4:5]
	v_mov_b32_e32 v29, v25
	s_xor_b64 exec, exec, s[4:5]
	s_cbranch_execz .LBB13_128
; %bb.127:
	s_waitcnt lgkmcnt(0)
	v_lshlrev_b32_e32 v28, 1, v26
	ds_read_u16 v29, v28 offset:2
	v_mov_b32_e32 v28, v24
.LBB13_128:
	s_or_b64 exec, exec, s[4:5]
	v_add_u32_e32 v31, 1, v27
	v_add_u32_e32 v30, 1, v26
	v_cndmask_b32_e64 v31, v31, v27, s[2:3]
	v_cndmask_b32_e64 v30, v26, v30, s[2:3]
	v_cmp_ge_i32_e64 s[6:7], v31, v14
	s_waitcnt lgkmcnt(0)
	v_cmp_lt_u16_e64 s[8:9], v29, v28
	v_cmp_lt_i32_e64 s[4:5], v30, v15
	s_or_b64 s[6:7], s[6:7], s[8:9]
	s_and_b64 s[4:5], s[4:5], s[6:7]
	s_xor_b64 s[6:7], s[4:5], -1
                                        ; implicit-def: $vgpr32
	s_and_saveexec_b64 s[8:9], s[6:7]
	s_xor_b64 s[6:7], exec, s[8:9]
; %bb.129:
	v_lshlrev_b32_e32 v32, 1, v31
	ds_read_u16 v32, v32 offset:2
; %bb.130:
	s_or_saveexec_b64 s[6:7], s[6:7]
	v_mov_b32_e32 v33, v29
	s_xor_b64 exec, exec, s[6:7]
	s_cbranch_execz .LBB13_132
; %bb.131:
	s_waitcnt lgkmcnt(0)
	v_lshlrev_b32_e32 v32, 1, v30
	ds_read_u16 v33, v32 offset:2
	v_mov_b32_e32 v32, v28
.LBB13_132:
	s_or_b64 exec, exec, s[6:7]
	v_add_u32_e32 v35, 1, v31
	v_add_u32_e32 v34, 1, v30
	v_cndmask_b32_e64 v35, v35, v31, s[4:5]
	v_cndmask_b32_e64 v34, v30, v34, s[4:5]
	v_cmp_ge_i32_e64 s[8:9], v35, v14
	s_waitcnt lgkmcnt(0)
	v_cmp_lt_u16_e64 s[10:11], v33, v32
	v_cmp_lt_i32_e64 s[6:7], v34, v15
	s_or_b64 s[8:9], s[8:9], s[10:11]
	s_and_b64 s[6:7], s[6:7], s[8:9]
	s_xor_b64 s[8:9], s[6:7], -1
                                        ; implicit-def: $vgpr36
	s_and_saveexec_b64 s[10:11], s[8:9]
	s_xor_b64 s[8:9], exec, s[10:11]
; %bb.133:
	v_lshlrev_b32_e32 v36, 1, v35
	ds_read_u16 v36, v36 offset:2
; %bb.134:
	s_or_saveexec_b64 s[8:9], s[8:9]
	v_mov_b32_e32 v37, v33
	s_xor_b64 exec, exec, s[8:9]
	s_cbranch_execz .LBB13_136
; %bb.135:
	s_waitcnt lgkmcnt(0)
	v_lshlrev_b32_e32 v36, 1, v34
	ds_read_u16 v37, v36 offset:2
	v_mov_b32_e32 v36, v32
.LBB13_136:
	s_or_b64 exec, exec, s[8:9]
	v_add_u32_e32 v40, 1, v35
	v_add_u32_e32 v38, 1, v34
	v_cndmask_b32_e64 v40, v40, v35, s[6:7]
	v_cndmask_b32_e64 v39, v34, v38, s[6:7]
	v_cmp_ge_i32_e64 s[10:11], v40, v14
	s_waitcnt lgkmcnt(0)
	v_cmp_lt_u16_e64 s[12:13], v37, v36
	v_cmp_lt_i32_e64 s[8:9], v39, v15
	s_or_b64 s[10:11], s[10:11], s[12:13]
	s_and_b64 s[8:9], s[8:9], s[10:11]
	s_xor_b64 s[10:11], s[8:9], -1
                                        ; implicit-def: $vgpr38
	s_and_saveexec_b64 s[12:13], s[10:11]
	s_xor_b64 s[10:11], exec, s[12:13]
; %bb.137:
	v_lshlrev_b32_e32 v38, 1, v40
	ds_read_u16 v38, v38 offset:2
; %bb.138:
	s_or_saveexec_b64 s[10:11], s[10:11]
	v_mov_b32_e32 v41, v37
	s_xor_b64 exec, exec, s[10:11]
	s_cbranch_execz .LBB13_140
; %bb.139:
	s_waitcnt lgkmcnt(0)
	v_lshlrev_b32_e32 v38, 1, v39
	ds_read_u16 v41, v38 offset:2
	v_mov_b32_e32 v38, v36
.LBB13_140:
	s_or_b64 exec, exec, s[10:11]
	v_add_u32_e32 v42, 1, v40
	v_cndmask_b32_e64 v36, v36, v37, s[8:9]
	v_add_u32_e32 v37, 1, v39
	v_cndmask_b32_e64 v42, v42, v40, s[8:9]
	v_cndmask_b32_e64 v37, v39, v37, s[8:9]
	;; [unrolled: 1-line block ×6, first 2 shown]
	v_cmp_ge_i32_e64 s[0:1], v42, v14
	s_waitcnt lgkmcnt(0)
	v_cmp_lt_u16_e64 s[2:3], v41, v38
	v_cndmask_b32_e32 v17, v17, v18, vcc
	v_cndmask_b32_e32 v16, v16, v19, vcc
	v_cmp_lt_i32_e32 vcc, v37, v15
	s_or_b64 s[0:1], s[0:1], s[2:3]
	s_and_b64 vcc, vcc, s[0:1]
	v_cndmask_b32_e64 v39, v40, v39, s[8:9]
	v_cndmask_b32_e64 v32, v32, v33, s[6:7]
	;; [unrolled: 1-line block ×5, first 2 shown]
	v_cndmask_b32_e32 v14, v42, v37, vcc
	s_barrier
	ds_write_b8 v9, v5
	ds_write_b8 v9, v7 offset:1
	ds_write_b8 v9, v8 offset:2
	;; [unrolled: 1-line block ×6, first 2 shown]
	s_waitcnt lgkmcnt(0)
	s_barrier
	ds_read_u8 v5, v16
	ds_read_u8 v6, v14
	;; [unrolled: 1-line block ×7, first 2 shown]
	s_mov_b32 s0, 0x5040100
	v_perm_b32 v16, v36, v32, s0
	v_perm_b32 v15, v28, v24, s0
	;; [unrolled: 1-line block ×3, first 2 shown]
	v_cndmask_b32_e32 v18, v38, v41, vcc
	s_waitcnt lgkmcnt(0)
	s_barrier
	ds_write_b96 v10, v[14:16]
	ds_write_b16 v10, v18 offset:12
	v_and_b32_e32 v14, 0xc0, v0
	v_mul_u32_u24_e32 v15, 7, v14
	v_and_b32_e32 v14, 63, v0
	v_min_u32_e32 v16, 0x700, v15
	v_min_u32_e32 v17, 0x620, v15
	;; [unrolled: 1-line block ×3, first 2 shown]
	v_mul_u32_u24_e32 v19, 7, v14
	v_add_u32_e32 v14, 0xe0, v17
	v_add_u32_e32 v15, 0x1c0, v15
	v_sub_u32_e32 v20, v15, v14
	v_sub_u32_e32 v21, v14, v16
	;; [unrolled: 1-line block ×3, first 2 shown]
	v_cmp_ge_i32_e32 vcc, v19, v20
	v_cndmask_b32_e32 v20, 0, v22, vcc
	v_min_i32_e32 v21, v19, v21
	v_lshlrev_b32_e32 v18, 1, v16
	v_cmp_lt_i32_e32 vcc, v20, v21
	s_waitcnt lgkmcnt(0)
	s_barrier
	s_and_saveexec_b64 s[0:1], vcc
	s_cbranch_execz .LBB13_144
; %bb.141:
	v_lshlrev_b32_e32 v22, 1, v19
	v_lshl_add_u32 v22, v17, 1, v22
	s_mov_b64 s[2:3], 0
.LBB13_142:                             ; =>This Inner Loop Header: Depth=1
	v_sub_u32_e32 v23, v21, v20
	v_lshrrev_b32_e32 v23, 1, v23
	v_add_u32_e32 v23, v23, v20
	v_not_b32_e32 v25, v23
	v_lshl_add_u32 v24, v23, 1, v18
	v_lshl_add_u32 v25, v25, 1, v22
	ds_read_u16 v24, v24
	ds_read_u16 v25, v25 offset:448
	v_add_u32_e32 v26, 1, v23
	s_waitcnt lgkmcnt(0)
	v_cmp_lt_u16_e32 vcc, v25, v24
	v_cndmask_b32_e32 v21, v21, v23, vcc
	v_cndmask_b32_e32 v20, v26, v20, vcc
	v_cmp_ge_i32_e32 vcc, v20, v21
	s_or_b64 s[2:3], vcc, s[2:3]
	s_andn2_b64 exec, exec, s[2:3]
	s_cbranch_execnz .LBB13_142
; %bb.143:
	s_or_b64 exec, exec, s[2:3]
.LBB13_144:
	s_or_b64 exec, exec, s[0:1]
	v_add_u32_e32 v17, v17, v19
	v_lshl_add_u32 v21, v20, 1, v18
	v_sub_u32_e32 v17, v17, v20
	v_lshlrev_b32_e32 v22, 1, v17
	ds_read_u16 v17, v21
	ds_read_u16 v18, v22 offset:448
	v_add_u32_e32 v16, v20, v16
	v_add_u32_e32 v19, v14, v19
	v_sub_u32_e32 v19, v19, v20
	v_cmp_le_i32_e64 s[0:1], v14, v16
	s_waitcnt lgkmcnt(0)
	v_cmp_lt_u16_e64 s[2:3], v18, v17
	v_cmp_gt_i32_e32 vcc, v15, v19
	s_or_b64 s[0:1], s[0:1], s[2:3]
	s_and_b64 vcc, vcc, s[0:1]
	s_xor_b64 s[0:1], vcc, -1
                                        ; implicit-def: $vgpr20
	s_and_saveexec_b64 s[2:3], s[0:1]
	s_xor_b64 s[0:1], exec, s[2:3]
; %bb.145:
	ds_read_u16 v20, v21 offset:2
                                        ; implicit-def: $vgpr22
; %bb.146:
	s_or_saveexec_b64 s[0:1], s[0:1]
	v_mov_b32_e32 v21, v18
	s_xor_b64 exec, exec, s[0:1]
	s_cbranch_execz .LBB13_148
; %bb.147:
	ds_read_u16 v21, v22 offset:450
	s_waitcnt lgkmcnt(1)
	v_mov_b32_e32 v20, v17
.LBB13_148:
	s_or_b64 exec, exec, s[0:1]
	v_add_u32_e32 v23, 1, v16
	v_add_u32_e32 v22, 1, v19
	v_cndmask_b32_e32 v23, v23, v16, vcc
	v_cndmask_b32_e32 v22, v19, v22, vcc
	v_cmp_ge_i32_e64 s[2:3], v23, v14
	s_waitcnt lgkmcnt(0)
	v_cmp_lt_u16_e64 s[4:5], v21, v20
	v_cmp_lt_i32_e64 s[0:1], v22, v15
	s_or_b64 s[2:3], s[2:3], s[4:5]
	s_and_b64 s[0:1], s[0:1], s[2:3]
	s_xor_b64 s[2:3], s[0:1], -1
                                        ; implicit-def: $vgpr24
	s_and_saveexec_b64 s[4:5], s[2:3]
	s_xor_b64 s[2:3], exec, s[4:5]
; %bb.149:
	v_lshlrev_b32_e32 v24, 1, v23
	ds_read_u16 v24, v24 offset:2
; %bb.150:
	s_or_saveexec_b64 s[2:3], s[2:3]
	v_mov_b32_e32 v25, v21
	s_xor_b64 exec, exec, s[2:3]
	s_cbranch_execz .LBB13_152
; %bb.151:
	s_waitcnt lgkmcnt(0)
	v_lshlrev_b32_e32 v24, 1, v22
	ds_read_u16 v25, v24 offset:2
	v_mov_b32_e32 v24, v20
.LBB13_152:
	s_or_b64 exec, exec, s[2:3]
	v_add_u32_e32 v27, 1, v23
	v_add_u32_e32 v26, 1, v22
	v_cndmask_b32_e64 v27, v27, v23, s[0:1]
	v_cndmask_b32_e64 v26, v22, v26, s[0:1]
	v_cmp_ge_i32_e64 s[4:5], v27, v14
	s_waitcnt lgkmcnt(0)
	v_cmp_lt_u16_e64 s[6:7], v25, v24
	v_cmp_lt_i32_e64 s[2:3], v26, v15
	s_or_b64 s[4:5], s[4:5], s[6:7]
	s_and_b64 s[2:3], s[2:3], s[4:5]
	s_xor_b64 s[4:5], s[2:3], -1
                                        ; implicit-def: $vgpr28
	s_and_saveexec_b64 s[6:7], s[4:5]
	s_xor_b64 s[4:5], exec, s[6:7]
; %bb.153:
	v_lshlrev_b32_e32 v28, 1, v27
	ds_read_u16 v28, v28 offset:2
; %bb.154:
	s_or_saveexec_b64 s[4:5], s[4:5]
	v_mov_b32_e32 v29, v25
	s_xor_b64 exec, exec, s[4:5]
	s_cbranch_execz .LBB13_156
; %bb.155:
	s_waitcnt lgkmcnt(0)
	v_lshlrev_b32_e32 v28, 1, v26
	ds_read_u16 v29, v28 offset:2
	v_mov_b32_e32 v28, v24
.LBB13_156:
	s_or_b64 exec, exec, s[4:5]
	v_add_u32_e32 v31, 1, v27
	v_add_u32_e32 v30, 1, v26
	v_cndmask_b32_e64 v31, v31, v27, s[2:3]
	v_cndmask_b32_e64 v30, v26, v30, s[2:3]
	v_cmp_ge_i32_e64 s[6:7], v31, v14
	s_waitcnt lgkmcnt(0)
	v_cmp_lt_u16_e64 s[8:9], v29, v28
	v_cmp_lt_i32_e64 s[4:5], v30, v15
	s_or_b64 s[6:7], s[6:7], s[8:9]
	s_and_b64 s[4:5], s[4:5], s[6:7]
	s_xor_b64 s[6:7], s[4:5], -1
                                        ; implicit-def: $vgpr32
	s_and_saveexec_b64 s[8:9], s[6:7]
	s_xor_b64 s[6:7], exec, s[8:9]
; %bb.157:
	v_lshlrev_b32_e32 v32, 1, v31
	ds_read_u16 v32, v32 offset:2
; %bb.158:
	s_or_saveexec_b64 s[6:7], s[6:7]
	v_mov_b32_e32 v33, v29
	s_xor_b64 exec, exec, s[6:7]
	s_cbranch_execz .LBB13_160
; %bb.159:
	s_waitcnt lgkmcnt(0)
	v_lshlrev_b32_e32 v32, 1, v30
	ds_read_u16 v33, v32 offset:2
	v_mov_b32_e32 v32, v28
.LBB13_160:
	s_or_b64 exec, exec, s[6:7]
	v_add_u32_e32 v35, 1, v31
	v_add_u32_e32 v34, 1, v30
	v_cndmask_b32_e64 v35, v35, v31, s[4:5]
	v_cndmask_b32_e64 v34, v30, v34, s[4:5]
	v_cmp_ge_i32_e64 s[8:9], v35, v14
	s_waitcnt lgkmcnt(0)
	v_cmp_lt_u16_e64 s[10:11], v33, v32
	v_cmp_lt_i32_e64 s[6:7], v34, v15
	s_or_b64 s[8:9], s[8:9], s[10:11]
	s_and_b64 s[6:7], s[6:7], s[8:9]
	s_xor_b64 s[8:9], s[6:7], -1
                                        ; implicit-def: $vgpr36
	s_and_saveexec_b64 s[10:11], s[8:9]
	s_xor_b64 s[8:9], exec, s[10:11]
; %bb.161:
	v_lshlrev_b32_e32 v36, 1, v35
	ds_read_u16 v36, v36 offset:2
; %bb.162:
	s_or_saveexec_b64 s[8:9], s[8:9]
	v_mov_b32_e32 v37, v33
	s_xor_b64 exec, exec, s[8:9]
	s_cbranch_execz .LBB13_164
; %bb.163:
	s_waitcnt lgkmcnt(0)
	v_lshlrev_b32_e32 v36, 1, v34
	ds_read_u16 v37, v36 offset:2
	v_mov_b32_e32 v36, v32
.LBB13_164:
	s_or_b64 exec, exec, s[8:9]
	v_add_u32_e32 v40, 1, v35
	v_add_u32_e32 v38, 1, v34
	v_cndmask_b32_e64 v40, v40, v35, s[6:7]
	v_cndmask_b32_e64 v39, v34, v38, s[6:7]
	v_cmp_ge_i32_e64 s[10:11], v40, v14
	s_waitcnt lgkmcnt(0)
	v_cmp_lt_u16_e64 s[12:13], v37, v36
	v_cmp_lt_i32_e64 s[8:9], v39, v15
	s_or_b64 s[10:11], s[10:11], s[12:13]
	s_and_b64 s[8:9], s[8:9], s[10:11]
	s_xor_b64 s[10:11], s[8:9], -1
                                        ; implicit-def: $vgpr38
	s_and_saveexec_b64 s[12:13], s[10:11]
	s_xor_b64 s[10:11], exec, s[12:13]
; %bb.165:
	v_lshlrev_b32_e32 v38, 1, v40
	ds_read_u16 v38, v38 offset:2
; %bb.166:
	s_or_saveexec_b64 s[10:11], s[10:11]
	v_mov_b32_e32 v41, v37
	s_xor_b64 exec, exec, s[10:11]
	s_cbranch_execz .LBB13_168
; %bb.167:
	s_waitcnt lgkmcnt(0)
	v_lshlrev_b32_e32 v38, 1, v39
	ds_read_u16 v41, v38 offset:2
	v_mov_b32_e32 v38, v36
.LBB13_168:
	s_or_b64 exec, exec, s[10:11]
	v_add_u32_e32 v42, 1, v40
	v_cndmask_b32_e64 v36, v36, v37, s[8:9]
	v_add_u32_e32 v37, 1, v39
	v_cndmask_b32_e64 v42, v42, v40, s[8:9]
	v_cndmask_b32_e64 v37, v39, v37, s[8:9]
	;; [unrolled: 1-line block ×6, first 2 shown]
	v_cmp_ge_i32_e64 s[0:1], v42, v14
	s_waitcnt lgkmcnt(0)
	v_cmp_lt_u16_e64 s[2:3], v41, v38
	v_cndmask_b32_e32 v17, v17, v18, vcc
	v_cndmask_b32_e32 v16, v16, v19, vcc
	v_cmp_lt_i32_e32 vcc, v37, v15
	s_or_b64 s[0:1], s[0:1], s[2:3]
	s_and_b64 vcc, vcc, s[0:1]
	v_cndmask_b32_e64 v39, v40, v39, s[8:9]
	v_cndmask_b32_e64 v32, v32, v33, s[6:7]
	;; [unrolled: 1-line block ×5, first 2 shown]
	v_cndmask_b32_e32 v14, v42, v37, vcc
	s_barrier
	ds_write_b8 v9, v5
	ds_write_b8 v9, v7 offset:1
	ds_write_b8 v9, v8 offset:2
	;; [unrolled: 1-line block ×6, first 2 shown]
	s_waitcnt lgkmcnt(0)
	s_barrier
	ds_read_u8 v5, v16
	ds_read_u8 v6, v14
	;; [unrolled: 1-line block ×7, first 2 shown]
	s_mov_b32 s0, 0x5040100
	v_perm_b32 v16, v36, v32, s0
	v_perm_b32 v15, v28, v24, s0
	;; [unrolled: 1-line block ×3, first 2 shown]
	v_cndmask_b32_e32 v18, v38, v41, vcc
	s_waitcnt lgkmcnt(0)
	s_barrier
	ds_write_b96 v10, v[14:16]
	ds_write_b16 v10, v18 offset:12
	v_and_b32_e32 v14, 0x80, v0
	v_mul_u32_u24_e32 v14, 7, v14
	v_and_b32_e32 v0, 0x7f, v0
	v_min_u32_e32 v15, 0x700, v14
	v_min_u32_e32 v16, 0x540, v14
	;; [unrolled: 1-line block ×3, first 2 shown]
	v_mul_u32_u24_e32 v18, 7, v0
	v_add_u32_e32 v0, 0x1c0, v16
	v_add_u32_e32 v14, 0x380, v14
	v_sub_u32_e32 v19, v14, v0
	v_sub_u32_e32 v20, v0, v15
	;; [unrolled: 1-line block ×3, first 2 shown]
	v_cmp_ge_i32_e32 vcc, v18, v19
	v_cndmask_b32_e32 v19, 0, v21, vcc
	v_min_i32_e32 v20, v18, v20
	v_lshlrev_b32_e32 v17, 1, v15
	v_cmp_lt_i32_e32 vcc, v19, v20
	s_waitcnt lgkmcnt(0)
	s_barrier
	s_and_saveexec_b64 s[0:1], vcc
	s_cbranch_execz .LBB13_172
; %bb.169:
	v_lshlrev_b32_e32 v21, 1, v18
	v_lshl_add_u32 v21, v16, 1, v21
	s_mov_b64 s[2:3], 0
.LBB13_170:                             ; =>This Inner Loop Header: Depth=1
	v_sub_u32_e32 v22, v20, v19
	v_lshrrev_b32_e32 v22, 1, v22
	v_add_u32_e32 v22, v22, v19
	v_not_b32_e32 v24, v22
	v_lshl_add_u32 v23, v22, 1, v17
	v_lshl_add_u32 v24, v24, 1, v21
	ds_read_u16 v23, v23
	ds_read_u16 v24, v24 offset:896
	v_add_u32_e32 v25, 1, v22
	s_waitcnt lgkmcnt(0)
	v_cmp_lt_u16_e32 vcc, v24, v23
	v_cndmask_b32_e32 v20, v20, v22, vcc
	v_cndmask_b32_e32 v19, v25, v19, vcc
	v_cmp_ge_i32_e32 vcc, v19, v20
	s_or_b64 s[2:3], vcc, s[2:3]
	s_andn2_b64 exec, exec, s[2:3]
	s_cbranch_execnz .LBB13_170
; %bb.171:
	s_or_b64 exec, exec, s[2:3]
.LBB13_172:
	s_or_b64 exec, exec, s[0:1]
	v_add_u32_e32 v16, v16, v18
	v_lshl_add_u32 v20, v19, 1, v17
	v_sub_u32_e32 v16, v16, v19
	v_lshlrev_b32_e32 v21, 1, v16
	ds_read_u16 v16, v20
	ds_read_u16 v17, v21 offset:896
	v_add_u32_e32 v15, v19, v15
	v_add_u32_e32 v18, v0, v18
	v_sub_u32_e32 v18, v18, v19
	v_cmp_le_i32_e64 s[0:1], v0, v15
	s_waitcnt lgkmcnt(0)
	v_cmp_lt_u16_e64 s[2:3], v17, v16
	v_cmp_gt_i32_e32 vcc, v14, v18
	s_or_b64 s[0:1], s[0:1], s[2:3]
	s_and_b64 vcc, vcc, s[0:1]
	s_xor_b64 s[0:1], vcc, -1
                                        ; implicit-def: $vgpr19
	s_and_saveexec_b64 s[2:3], s[0:1]
	s_xor_b64 s[0:1], exec, s[2:3]
; %bb.173:
	ds_read_u16 v19, v20 offset:2
                                        ; implicit-def: $vgpr21
; %bb.174:
	s_or_saveexec_b64 s[0:1], s[0:1]
	v_mov_b32_e32 v20, v17
	s_xor_b64 exec, exec, s[0:1]
	s_cbranch_execz .LBB13_176
; %bb.175:
	ds_read_u16 v20, v21 offset:898
	s_waitcnt lgkmcnt(1)
	v_mov_b32_e32 v19, v16
.LBB13_176:
	s_or_b64 exec, exec, s[0:1]
	v_add_u32_e32 v22, 1, v15
	v_add_u32_e32 v21, 1, v18
	v_cndmask_b32_e32 v22, v22, v15, vcc
	v_cndmask_b32_e32 v21, v18, v21, vcc
	v_cmp_ge_i32_e64 s[2:3], v22, v0
	s_waitcnt lgkmcnt(0)
	v_cmp_lt_u16_e64 s[4:5], v20, v19
	v_cmp_lt_i32_e64 s[0:1], v21, v14
	s_or_b64 s[2:3], s[2:3], s[4:5]
	s_and_b64 s[0:1], s[0:1], s[2:3]
	s_xor_b64 s[2:3], s[0:1], -1
                                        ; implicit-def: $vgpr23
	s_and_saveexec_b64 s[4:5], s[2:3]
	s_xor_b64 s[2:3], exec, s[4:5]
; %bb.177:
	v_lshlrev_b32_e32 v23, 1, v22
	ds_read_u16 v23, v23 offset:2
; %bb.178:
	s_or_saveexec_b64 s[2:3], s[2:3]
	v_mov_b32_e32 v24, v20
	s_xor_b64 exec, exec, s[2:3]
	s_cbranch_execz .LBB13_180
; %bb.179:
	s_waitcnt lgkmcnt(0)
	v_lshlrev_b32_e32 v23, 1, v21
	ds_read_u16 v24, v23 offset:2
	v_mov_b32_e32 v23, v19
.LBB13_180:
	s_or_b64 exec, exec, s[2:3]
	v_add_u32_e32 v26, 1, v22
	v_add_u32_e32 v25, 1, v21
	v_cndmask_b32_e64 v26, v26, v22, s[0:1]
	v_cndmask_b32_e64 v25, v21, v25, s[0:1]
	v_cmp_ge_i32_e64 s[4:5], v26, v0
	s_waitcnt lgkmcnt(0)
	v_cmp_lt_u16_e64 s[6:7], v24, v23
	v_cmp_lt_i32_e64 s[2:3], v25, v14
	s_or_b64 s[4:5], s[4:5], s[6:7]
	s_and_b64 s[2:3], s[2:3], s[4:5]
	s_xor_b64 s[4:5], s[2:3], -1
                                        ; implicit-def: $vgpr27
	s_and_saveexec_b64 s[6:7], s[4:5]
	s_xor_b64 s[4:5], exec, s[6:7]
; %bb.181:
	v_lshlrev_b32_e32 v27, 1, v26
	ds_read_u16 v27, v27 offset:2
; %bb.182:
	s_or_saveexec_b64 s[4:5], s[4:5]
	v_mov_b32_e32 v28, v24
	s_xor_b64 exec, exec, s[4:5]
	s_cbranch_execz .LBB13_184
; %bb.183:
	s_waitcnt lgkmcnt(0)
	v_lshlrev_b32_e32 v27, 1, v25
	ds_read_u16 v28, v27 offset:2
	v_mov_b32_e32 v27, v23
.LBB13_184:
	s_or_b64 exec, exec, s[4:5]
	v_add_u32_e32 v30, 1, v26
	v_add_u32_e32 v29, 1, v25
	v_cndmask_b32_e64 v30, v30, v26, s[2:3]
	v_cndmask_b32_e64 v29, v25, v29, s[2:3]
	v_cmp_ge_i32_e64 s[6:7], v30, v0
	s_waitcnt lgkmcnt(0)
	v_cmp_lt_u16_e64 s[8:9], v28, v27
	v_cmp_lt_i32_e64 s[4:5], v29, v14
	s_or_b64 s[6:7], s[6:7], s[8:9]
	s_and_b64 s[4:5], s[4:5], s[6:7]
	s_xor_b64 s[6:7], s[4:5], -1
                                        ; implicit-def: $vgpr31
	s_and_saveexec_b64 s[8:9], s[6:7]
	s_xor_b64 s[6:7], exec, s[8:9]
; %bb.185:
	v_lshlrev_b32_e32 v31, 1, v30
	ds_read_u16 v31, v31 offset:2
; %bb.186:
	s_or_saveexec_b64 s[6:7], s[6:7]
	v_mov_b32_e32 v32, v28
	s_xor_b64 exec, exec, s[6:7]
	s_cbranch_execz .LBB13_188
; %bb.187:
	s_waitcnt lgkmcnt(0)
	v_lshlrev_b32_e32 v31, 1, v29
	ds_read_u16 v32, v31 offset:2
	v_mov_b32_e32 v31, v27
.LBB13_188:
	s_or_b64 exec, exec, s[6:7]
	v_add_u32_e32 v34, 1, v30
	v_add_u32_e32 v33, 1, v29
	v_cndmask_b32_e64 v34, v34, v30, s[4:5]
	v_cndmask_b32_e64 v33, v29, v33, s[4:5]
	v_cmp_ge_i32_e64 s[8:9], v34, v0
	s_waitcnt lgkmcnt(0)
	v_cmp_lt_u16_e64 s[10:11], v32, v31
	v_cmp_lt_i32_e64 s[6:7], v33, v14
	s_or_b64 s[8:9], s[8:9], s[10:11]
	s_and_b64 s[6:7], s[6:7], s[8:9]
	s_xor_b64 s[8:9], s[6:7], -1
                                        ; implicit-def: $vgpr35
	s_and_saveexec_b64 s[10:11], s[8:9]
	s_xor_b64 s[8:9], exec, s[10:11]
; %bb.189:
	v_lshlrev_b32_e32 v35, 1, v34
	ds_read_u16 v35, v35 offset:2
; %bb.190:
	s_or_saveexec_b64 s[8:9], s[8:9]
	v_mov_b32_e32 v36, v32
	s_xor_b64 exec, exec, s[8:9]
	s_cbranch_execz .LBB13_192
; %bb.191:
	s_waitcnt lgkmcnt(0)
	v_lshlrev_b32_e32 v35, 1, v33
	ds_read_u16 v36, v35 offset:2
	v_mov_b32_e32 v35, v31
.LBB13_192:
	s_or_b64 exec, exec, s[8:9]
	v_add_u32_e32 v39, 1, v34
	v_add_u32_e32 v37, 1, v33
	v_cndmask_b32_e64 v39, v39, v34, s[6:7]
	v_cndmask_b32_e64 v38, v33, v37, s[6:7]
	v_cmp_ge_i32_e64 s[10:11], v39, v0
	s_waitcnt lgkmcnt(0)
	v_cmp_lt_u16_e64 s[12:13], v36, v35
	v_cmp_lt_i32_e64 s[8:9], v38, v14
	s_or_b64 s[10:11], s[10:11], s[12:13]
	s_and_b64 s[8:9], s[8:9], s[10:11]
	s_xor_b64 s[10:11], s[8:9], -1
                                        ; implicit-def: $vgpr37
	s_and_saveexec_b64 s[12:13], s[10:11]
	s_xor_b64 s[10:11], exec, s[12:13]
; %bb.193:
	v_lshlrev_b32_e32 v37, 1, v39
	ds_read_u16 v37, v37 offset:2
; %bb.194:
	s_or_saveexec_b64 s[10:11], s[10:11]
	v_mov_b32_e32 v40, v36
	s_xor_b64 exec, exec, s[10:11]
	s_cbranch_execz .LBB13_196
; %bb.195:
	s_waitcnt lgkmcnt(0)
	v_lshlrev_b32_e32 v37, 1, v38
	ds_read_u16 v40, v37 offset:2
	v_mov_b32_e32 v37, v35
.LBB13_196:
	s_or_b64 exec, exec, s[10:11]
	v_add_u32_e32 v41, 1, v39
	v_cndmask_b32_e64 v35, v35, v36, s[8:9]
	v_add_u32_e32 v36, 1, v38
	v_cndmask_b32_e64 v41, v41, v39, s[8:9]
	v_cndmask_b32_e64 v36, v38, v36, s[8:9]
	;; [unrolled: 1-line block ×6, first 2 shown]
	v_cmp_ge_i32_e64 s[0:1], v41, v0
	s_waitcnt lgkmcnt(0)
	v_cmp_lt_u16_e64 s[2:3], v40, v37
	v_cndmask_b32_e32 v16, v16, v17, vcc
	v_cndmask_b32_e32 v15, v15, v18, vcc
	v_cmp_lt_i32_e32 vcc, v36, v14
	s_or_b64 s[0:1], s[0:1], s[2:3]
	s_and_b64 vcc, vcc, s[0:1]
	v_cndmask_b32_e64 v38, v39, v38, s[8:9]
	v_cndmask_b32_e64 v31, v31, v32, s[6:7]
	;; [unrolled: 1-line block ×5, first 2 shown]
	v_cndmask_b32_e32 v14, v41, v36, vcc
	s_barrier
	ds_write_b8 v9, v5
	ds_write_b8 v9, v7 offset:1
	ds_write_b8 v9, v8 offset:2
	ds_write_b8 v9, v11 offset:3
	ds_write_b8 v9, v12 offset:4
	ds_write_b8 v9, v13 offset:5
	ds_write_b8 v9, v6 offset:6
	s_waitcnt lgkmcnt(0)
	s_barrier
	ds_read_u8 v0, v15
	ds_read_u8 v5, v14
	;; [unrolled: 1-line block ×7, first 2 shown]
	s_mov_b32 s0, 0x5040100
	v_perm_b32 v15, v35, v31, s0
	v_perm_b32 v14, v27, v23, s0
	;; [unrolled: 1-line block ×3, first 2 shown]
	v_cndmask_b32_e32 v17, v37, v40, vcc
	s_waitcnt lgkmcnt(0)
	s_barrier
	ds_write_b96 v10, v[13:15]
	ds_write_b16 v10, v17 offset:12
	v_mov_b32_e32 v13, 0x380
	v_sub_u32_e64 v14, v9, v13 clamp
	v_min_i32_e32 v15, 0x380, v9
	v_cmp_lt_i32_e32 vcc, v14, v15
	s_waitcnt lgkmcnt(0)
	s_barrier
	s_and_saveexec_b64 s[0:1], vcc
	s_cbranch_execz .LBB13_200
; %bb.197:
	s_mov_b64 s[2:3], 0
.LBB13_198:                             ; =>This Inner Loop Header: Depth=1
	v_sub_u32_e32 v16, v15, v14
	v_lshrrev_b32_e32 v16, 1, v16
	v_add_u32_e32 v16, v16, v14
	v_not_b32_e32 v18, v16
	v_lshlrev_b32_e32 v17, 1, v16
	v_lshl_add_u32 v18, v18, 1, v10
	ds_read_u16 v17, v17
	ds_read_u16 v18, v18 offset:1792
	v_add_u32_e32 v19, 1, v16
	s_waitcnt lgkmcnt(0)
	v_cmp_lt_u16_e32 vcc, v18, v17
	v_cndmask_b32_e32 v15, v15, v16, vcc
	v_cndmask_b32_e32 v14, v19, v14, vcc
	v_cmp_ge_i32_e32 vcc, v14, v15
	s_or_b64 s[2:3], vcc, s[2:3]
	s_andn2_b64 exec, exec, s[2:3]
	s_cbranch_execnz .LBB13_198
; %bb.199:
	s_or_b64 exec, exec, s[2:3]
.LBB13_200:
	s_or_b64 exec, exec, s[0:1]
	v_lshlrev_b32_e32 v18, 1, v14
	v_sub_u32_e32 v15, v9, v14
	v_lshlrev_b32_e32 v19, 1, v15
	ds_read_u16 v15, v18
	ds_read_u16 v16, v19 offset:1792
	v_add_u32_e32 v10, 0x380, v9
	v_sub_u32_e32 v10, v10, v14
	s_movk_i32 s0, 0x700
	v_cmp_gt_i32_e32 vcc, s0, v10
	v_cmp_le_i32_e64 s[0:1], v13, v14
	s_waitcnt lgkmcnt(0)
	v_cmp_lt_u16_e64 s[2:3], v16, v15
	s_or_b64 s[0:1], s[0:1], s[2:3]
	s_and_b64 vcc, vcc, s[0:1]
	s_xor_b64 s[0:1], vcc, -1
                                        ; implicit-def: $vgpr17
	s_and_saveexec_b64 s[2:3], s[0:1]
	s_xor_b64 s[0:1], exec, s[2:3]
; %bb.201:
	ds_read_u16 v17, v18 offset:2
                                        ; implicit-def: $vgpr19
; %bb.202:
	s_or_saveexec_b64 s[0:1], s[0:1]
	v_mov_b32_e32 v18, v16
	s_xor_b64 exec, exec, s[0:1]
	s_cbranch_execz .LBB13_204
; %bb.203:
	ds_read_u16 v18, v19 offset:1794
	s_waitcnt lgkmcnt(1)
	v_mov_b32_e32 v17, v15
.LBB13_204:
	s_or_b64 exec, exec, s[0:1]
	v_add_u32_e32 v20, 1, v14
	v_add_u32_e32 v19, 1, v10
	v_cndmask_b32_e32 v20, v20, v14, vcc
	v_cndmask_b32_e32 v19, v10, v19, vcc
	s_movk_i32 s0, 0x700
	v_cmp_ge_i32_e64 s[2:3], v20, v13
	s_waitcnt lgkmcnt(0)
	v_cmp_lt_u16_e64 s[4:5], v18, v17
	v_cmp_gt_i32_e64 s[0:1], s0, v19
	s_or_b64 s[2:3], s[2:3], s[4:5]
	s_and_b64 s[0:1], s[0:1], s[2:3]
	s_xor_b64 s[2:3], s[0:1], -1
                                        ; implicit-def: $vgpr21
	s_and_saveexec_b64 s[4:5], s[2:3]
	s_xor_b64 s[2:3], exec, s[4:5]
; %bb.205:
	v_lshlrev_b32_e32 v21, 1, v20
	ds_read_u16 v21, v21 offset:2
; %bb.206:
	s_or_saveexec_b64 s[2:3], s[2:3]
	v_mov_b32_e32 v22, v18
	s_xor_b64 exec, exec, s[2:3]
	s_cbranch_execz .LBB13_208
; %bb.207:
	s_waitcnt lgkmcnt(0)
	v_lshlrev_b32_e32 v21, 1, v19
	ds_read_u16 v22, v21 offset:2
	v_mov_b32_e32 v21, v17
.LBB13_208:
	s_or_b64 exec, exec, s[2:3]
	v_add_u32_e32 v24, 1, v20
	v_add_u32_e32 v23, 1, v19
	v_cndmask_b32_e64 v24, v24, v20, s[0:1]
	v_cndmask_b32_e64 v23, v19, v23, s[0:1]
	s_movk_i32 s2, 0x700
	v_cmp_ge_i32_e64 s[4:5], v24, v13
	s_waitcnt lgkmcnt(0)
	v_cmp_lt_u16_e64 s[6:7], v22, v21
	v_cmp_gt_i32_e64 s[2:3], s2, v23
	s_or_b64 s[4:5], s[4:5], s[6:7]
	s_and_b64 s[2:3], s[2:3], s[4:5]
	s_xor_b64 s[4:5], s[2:3], -1
                                        ; implicit-def: $vgpr25
	s_and_saveexec_b64 s[6:7], s[4:5]
	s_xor_b64 s[4:5], exec, s[6:7]
; %bb.209:
	v_lshlrev_b32_e32 v25, 1, v24
	ds_read_u16 v25, v25 offset:2
; %bb.210:
	s_or_saveexec_b64 s[4:5], s[4:5]
	v_mov_b32_e32 v26, v22
	s_xor_b64 exec, exec, s[4:5]
	s_cbranch_execz .LBB13_212
; %bb.211:
	s_waitcnt lgkmcnt(0)
	v_lshlrev_b32_e32 v25, 1, v23
	ds_read_u16 v26, v25 offset:2
	v_mov_b32_e32 v25, v21
.LBB13_212:
	s_or_b64 exec, exec, s[4:5]
	v_add_u32_e32 v28, 1, v24
	v_add_u32_e32 v27, 1, v23
	v_cndmask_b32_e64 v28, v28, v24, s[2:3]
	v_cndmask_b32_e64 v27, v23, v27, s[2:3]
	s_movk_i32 s4, 0x700
	v_cmp_ge_i32_e64 s[6:7], v28, v13
	s_waitcnt lgkmcnt(0)
	v_cmp_lt_u16_e64 s[8:9], v26, v25
	v_cmp_gt_i32_e64 s[4:5], s4, v27
	s_or_b64 s[6:7], s[6:7], s[8:9]
	s_and_b64 s[4:5], s[4:5], s[6:7]
	s_xor_b64 s[6:7], s[4:5], -1
                                        ; implicit-def: $vgpr29
	s_and_saveexec_b64 s[8:9], s[6:7]
	s_xor_b64 s[6:7], exec, s[8:9]
; %bb.213:
	v_lshlrev_b32_e32 v29, 1, v28
	ds_read_u16 v29, v29 offset:2
; %bb.214:
	s_or_saveexec_b64 s[6:7], s[6:7]
	v_mov_b32_e32 v30, v26
	s_xor_b64 exec, exec, s[6:7]
	s_cbranch_execz .LBB13_216
; %bb.215:
	s_waitcnt lgkmcnt(0)
	v_lshlrev_b32_e32 v29, 1, v27
	ds_read_u16 v30, v29 offset:2
	v_mov_b32_e32 v29, v25
.LBB13_216:
	s_or_b64 exec, exec, s[6:7]
	v_add_u32_e32 v32, 1, v28
	v_add_u32_e32 v31, 1, v27
	v_cndmask_b32_e64 v32, v32, v28, s[4:5]
	v_cndmask_b32_e64 v31, v27, v31, s[4:5]
	s_movk_i32 s6, 0x700
	v_cmp_ge_i32_e64 s[8:9], v32, v13
	s_waitcnt lgkmcnt(0)
	v_cmp_lt_u16_e64 s[10:11], v30, v29
	v_cmp_gt_i32_e64 s[6:7], s6, v31
	s_or_b64 s[8:9], s[8:9], s[10:11]
	s_and_b64 s[6:7], s[6:7], s[8:9]
	s_xor_b64 s[8:9], s[6:7], -1
                                        ; implicit-def: $vgpr34
	s_and_saveexec_b64 s[10:11], s[8:9]
	s_xor_b64 s[8:9], exec, s[10:11]
; %bb.217:
	v_lshlrev_b32_e32 v33, 1, v32
	ds_read_u16 v34, v33 offset:2
; %bb.218:
	s_or_saveexec_b64 s[8:9], s[8:9]
	v_mov_b32_e32 v33, v30
	s_xor_b64 exec, exec, s[8:9]
	s_cbranch_execz .LBB13_220
; %bb.219:
	v_lshlrev_b32_e32 v33, 1, v31
	ds_read_u16 v33, v33 offset:2
	s_waitcnt lgkmcnt(1)
	v_mov_b32_e32 v34, v29
.LBB13_220:
	s_or_b64 exec, exec, s[8:9]
	v_add_u32_e32 v36, 1, v32
	v_add_u32_e32 v35, 1, v31
	v_cndmask_b32_e64 v40, v36, v32, s[6:7]
	v_cndmask_b32_e64 v35, v31, v35, s[6:7]
	s_movk_i32 s8, 0x6ff
	v_cmp_lt_i32_e64 s[10:11], v40, v13
	s_waitcnt lgkmcnt(0)
	v_cmp_ge_u16_e64 s[12:13], v33, v34
	v_cmp_lt_i32_e64 s[8:9], s8, v35
	s_and_b64 s[10:11], s[10:11], s[12:13]
	s_or_b64 s[8:9], s[8:9], s[10:11]
                                        ; implicit-def: $vgpr39
                                        ; implicit-def: $vgpr38
	s_and_saveexec_b64 s[10:11], s[8:9]
	s_xor_b64 s[8:9], exec, s[10:11]
; %bb.221:
	v_lshlrev_b32_e32 v36, 1, v40
	ds_read_u16 v39, v36 offset:2
	v_add_u32_e32 v38, 1, v40
; %bb.222:
	s_or_saveexec_b64 s[8:9], s[8:9]
	v_mov_b32_e32 v37, v34
	v_mov_b32_e32 v36, v40
	s_xor_b64 exec, exec, s[8:9]
	s_cbranch_execz .LBB13_224
; %bb.223:
	v_lshlrev_b32_e32 v36, 1, v35
	ds_read_u16 v41, v36 offset:2
	s_waitcnt lgkmcnt(1)
	v_add_u32_e32 v39, 1, v35
	v_mov_b32_e32 v37, v33
	v_mov_b32_e32 v36, v35
	;; [unrolled: 1-line block ×5, first 2 shown]
	s_waitcnt lgkmcnt(0)
	v_mov_b32_e32 v33, v41
.LBB13_224:
	s_or_b64 exec, exec, s[8:9]
	v_cndmask_b32_e64 v17, v17, v18, s[0:1]
	v_cndmask_b32_e64 v19, v20, v19, s[0:1]
	s_movk_i32 s0, 0x700
	v_cndmask_b32_e64 v21, v21, v22, s[2:3]
	v_cndmask_b32_e32 v15, v15, v16, vcc
	v_cndmask_b32_e64 v22, v24, v23, s[2:3]
	v_cndmask_b32_e32 v10, v14, v10, vcc
	v_cmp_gt_i32_e32 vcc, s0, v35
	v_cmp_ge_i32_e64 s[0:1], v38, v13
	s_waitcnt lgkmcnt(0)
	v_cmp_lt_u16_e64 s[2:3], v33, v39
	s_or_b64 s[0:1], s[0:1], s[2:3]
	s_and_b64 vcc, vcc, s[0:1]
	v_cndmask_b32_e64 v29, v29, v30, s[6:7]
	v_cndmask_b32_e64 v25, v25, v26, s[4:5]
	v_cndmask_b32_e32 v13, v39, v33, vcc
	s_mov_b32 s0, 0x5040100
	s_barrier
	ds_write_b8 v9, v0
	ds_write_b8 v9, v6 offset:1
	ds_write_b8 v9, v7 offset:2
	;; [unrolled: 1-line block ×6, first 2 shown]
	s_waitcnt lgkmcnt(0)
	s_barrier
	v_perm_b32 v6, v25, v21, s0
	v_perm_b32 v5, v17, v15, s0
	;; [unrolled: 1-line block ×3, first 2 shown]
	global_store_short v[3:4], v13, off offset:12
	global_store_dwordx3 v[3:4], v[5:7], off
	v_cndmask_b32_e64 v16, v32, v31, s[6:7]
	v_cndmask_b32_e64 v18, v28, v27, s[4:5]
	v_cndmask_b32_e32 v14, v38, v35, vcc
	ds_read_u8 v0, v19
	ds_read_u8 v3, v36
	;; [unrolled: 1-line block ×7, first 2 shown]
	s_mov_b32 s0, 0xc0c0004
	s_waitcnt lgkmcnt(4)
	v_perm_b32 v0, v4, v0, s0
	s_waitcnt lgkmcnt(2)
	v_perm_b32 v4, v6, v5, s0
	v_lshl_or_b32 v0, v4, 16, v0
	s_waitcnt lgkmcnt(0)
	v_perm_b32 v3, v8, v3, s0
	global_store_byte v[1:2], v7, off offset:6
	global_store_short v[1:2], v3, off offset:4
	global_store_dword v[1:2], v0, off
	s_endpgm
	.section	.rodata,"a",@progbits
	.p2align	6, 0x0
	.amdhsa_kernel _Z21sort_key_value_kernelILj256ELj7EtcN10test_utils4lessEEvPT1_PT2_T3_
		.amdhsa_group_segment_fixed_size 3586
		.amdhsa_private_segment_fixed_size 0
		.amdhsa_kernarg_size 20
		.amdhsa_user_sgpr_count 6
		.amdhsa_user_sgpr_private_segment_buffer 1
		.amdhsa_user_sgpr_dispatch_ptr 0
		.amdhsa_user_sgpr_queue_ptr 0
		.amdhsa_user_sgpr_kernarg_segment_ptr 1
		.amdhsa_user_sgpr_dispatch_id 0
		.amdhsa_user_sgpr_flat_scratch_init 0
		.amdhsa_user_sgpr_private_segment_size 0
		.amdhsa_uses_dynamic_stack 0
		.amdhsa_system_sgpr_private_segment_wavefront_offset 0
		.amdhsa_system_sgpr_workgroup_id_x 1
		.amdhsa_system_sgpr_workgroup_id_y 0
		.amdhsa_system_sgpr_workgroup_id_z 0
		.amdhsa_system_sgpr_workgroup_info 0
		.amdhsa_system_vgpr_workitem_id 0
		.amdhsa_next_free_vgpr 43
		.amdhsa_next_free_sgpr 58
		.amdhsa_reserve_vcc 1
		.amdhsa_reserve_flat_scratch 0
		.amdhsa_float_round_mode_32 0
		.amdhsa_float_round_mode_16_64 0
		.amdhsa_float_denorm_mode_32 3
		.amdhsa_float_denorm_mode_16_64 3
		.amdhsa_dx10_clamp 1
		.amdhsa_ieee_mode 1
		.amdhsa_fp16_overflow 0
		.amdhsa_exception_fp_ieee_invalid_op 0
		.amdhsa_exception_fp_denorm_src 0
		.amdhsa_exception_fp_ieee_div_zero 0
		.amdhsa_exception_fp_ieee_overflow 0
		.amdhsa_exception_fp_ieee_underflow 0
		.amdhsa_exception_fp_ieee_inexact 0
		.amdhsa_exception_int_div_zero 0
	.end_amdhsa_kernel
	.section	.text._Z21sort_key_value_kernelILj256ELj7EtcN10test_utils4lessEEvPT1_PT2_T3_,"axG",@progbits,_Z21sort_key_value_kernelILj256ELj7EtcN10test_utils4lessEEvPT1_PT2_T3_,comdat
.Lfunc_end13:
	.size	_Z21sort_key_value_kernelILj256ELj7EtcN10test_utils4lessEEvPT1_PT2_T3_, .Lfunc_end13-_Z21sort_key_value_kernelILj256ELj7EtcN10test_utils4lessEEvPT1_PT2_T3_
                                        ; -- End function
	.set _Z21sort_key_value_kernelILj256ELj7EtcN10test_utils4lessEEvPT1_PT2_T3_.num_vgpr, 43
	.set _Z21sort_key_value_kernelILj256ELj7EtcN10test_utils4lessEEvPT1_PT2_T3_.num_agpr, 0
	.set _Z21sort_key_value_kernelILj256ELj7EtcN10test_utils4lessEEvPT1_PT2_T3_.numbered_sgpr, 58
	.set _Z21sort_key_value_kernelILj256ELj7EtcN10test_utils4lessEEvPT1_PT2_T3_.num_named_barrier, 0
	.set _Z21sort_key_value_kernelILj256ELj7EtcN10test_utils4lessEEvPT1_PT2_T3_.private_seg_size, 0
	.set _Z21sort_key_value_kernelILj256ELj7EtcN10test_utils4lessEEvPT1_PT2_T3_.uses_vcc, 1
	.set _Z21sort_key_value_kernelILj256ELj7EtcN10test_utils4lessEEvPT1_PT2_T3_.uses_flat_scratch, 0
	.set _Z21sort_key_value_kernelILj256ELj7EtcN10test_utils4lessEEvPT1_PT2_T3_.has_dyn_sized_stack, 0
	.set _Z21sort_key_value_kernelILj256ELj7EtcN10test_utils4lessEEvPT1_PT2_T3_.has_recursion, 0
	.set _Z21sort_key_value_kernelILj256ELj7EtcN10test_utils4lessEEvPT1_PT2_T3_.has_indirect_call, 0
	.section	.AMDGPU.csdata,"",@progbits
; Kernel info:
; codeLenInByte = 11960
; TotalNumSgprs: 62
; NumVgprs: 43
; ScratchSize: 0
; MemoryBound: 0
; FloatMode: 240
; IeeeMode: 1
; LDSByteSize: 3586 bytes/workgroup (compile time only)
; SGPRBlocks: 7
; VGPRBlocks: 10
; NumSGPRsForWavesPerEU: 62
; NumVGPRsForWavesPerEU: 43
; Occupancy: 5
; WaveLimiterHint : 0
; COMPUTE_PGM_RSRC2:SCRATCH_EN: 0
; COMPUTE_PGM_RSRC2:USER_SGPR: 6
; COMPUTE_PGM_RSRC2:TRAP_HANDLER: 0
; COMPUTE_PGM_RSRC2:TGID_X_EN: 1
; COMPUTE_PGM_RSRC2:TGID_Y_EN: 0
; COMPUTE_PGM_RSRC2:TGID_Z_EN: 0
; COMPUTE_PGM_RSRC2:TIDIG_COMP_CNT: 0
	.section	.text._Z21sort_key_value_kernelILj128ELj4EisN10test_utils4lessEEvPT1_PT2_T3_,"axG",@progbits,_Z21sort_key_value_kernelILj128ELj4EisN10test_utils4lessEEvPT1_PT2_T3_,comdat
	.protected	_Z21sort_key_value_kernelILj128ELj4EisN10test_utils4lessEEvPT1_PT2_T3_ ; -- Begin function _Z21sort_key_value_kernelILj128ELj4EisN10test_utils4lessEEvPT1_PT2_T3_
	.globl	_Z21sort_key_value_kernelILj128ELj4EisN10test_utils4lessEEvPT1_PT2_T3_
	.p2align	8
	.type	_Z21sort_key_value_kernelILj128ELj4EisN10test_utils4lessEEvPT1_PT2_T3_,@function
_Z21sort_key_value_kernelILj128ELj4EisN10test_utils4lessEEvPT1_PT2_T3_: ; @_Z21sort_key_value_kernelILj128ELj4EisN10test_utils4lessEEvPT1_PT2_T3_
; %bb.0:
	s_load_dwordx4 s[0:3], s[4:5], 0x0
	s_lshl_b32 s4, s6, 9
	s_mov_b32 s5, 0
	s_lshl_b64 s[6:7], s[4:5], 2
	v_lshlrev_b32_e32 v16, 4, v0
	s_waitcnt lgkmcnt(0)
	s_add_u32 s0, s0, s6
	s_addc_u32 s1, s1, s7
	s_lshl_b64 s[4:5], s[4:5], 1
	s_add_u32 s2, s2, s4
	global_load_dwordx4 v[1:4], v16, s[0:1]
	s_addc_u32 s3, s3, s5
	v_lshlrev_b32_e32 v15, 3, v0
	global_load_dwordx2 v[13:14], v15, s[2:3]
	s_waitcnt vmcnt(1)
	v_cmp_lt_i32_e32 vcc, v2, v1
	v_mov_b32_e32 v17, v1
	v_mov_b32_e32 v5, v1
	;; [unrolled: 1-line block ×3, first 2 shown]
	s_and_saveexec_b64 s[4:5], vcc
	s_cbranch_execz .LBB14_2
; %bb.1:
	v_mov_b32_e32 v5, v2
	s_waitcnt vmcnt(0)
	v_alignbit_b32 v13, v13, v13, 16
	v_mov_b32_e32 v17, v2
	v_mov_b32_e32 v2, v1
	;; [unrolled: 1-line block ×3, first 2 shown]
.LBB14_2:
	s_or_b64 exec, exec, s[4:5]
	v_mov_b32_e32 v8, v4
	v_mov_b32_e32 v7, v3
	;; [unrolled: 1-line block ×3, first 2 shown]
	v_cmp_lt_i32_e32 vcc, v4, v3
	v_mov_b32_e32 v11, v7
	v_mov_b32_e32 v10, v6
	;; [unrolled: 1-line block ×3, first 2 shown]
	s_and_saveexec_b64 s[4:5], vcc
	s_cbranch_execz .LBB14_4
; %bb.3:
	v_mov_b32_e32 v8, v3
	v_mov_b32_e32 v7, v4
	;; [unrolled: 1-line block ×3, first 2 shown]
	s_waitcnt vmcnt(0)
	v_alignbit_b32 v14, v14, v14, 16
	v_mov_b32_e32 v11, v7
	v_mov_b32_e32 v10, v6
	v_mov_b32_e32 v9, v5
	v_mov_b32_e32 v3, v4
.LBB14_4:
	s_or_b64 exec, exec, s[4:5]
	v_mov_b32_e32 v4, s1
	v_mov_b32_e32 v1, s3
	v_lshlrev_b32_e32 v0, 2, v0
	v_cmp_lt_i32_e32 vcc, v3, v2
	v_mov_b32_e32 v18, v3
	s_and_saveexec_b64 s[4:5], vcc
	s_xor_b64 s[4:5], exec, s[4:5]
	s_cbranch_execz .LBB14_6
; %bb.5:
	s_mov_b32 s1, 0x5040100
	s_waitcnt vmcnt(0)
	v_perm_b32 v19, v14, v13, s1
	s_mov_b32 s1, 0x7060302
	v_mov_b32_e32 v6, v3
	v_mov_b32_e32 v7, v2
	;; [unrolled: 1-line block ×3, first 2 shown]
	v_perm_b32 v14, v14, v13, s1
	v_mov_b32_e32 v11, v7
	v_mov_b32_e32 v10, v6
	;; [unrolled: 1-line block ×6, first 2 shown]
.LBB14_6:
	s_or_b64 exec, exec, s[4:5]
	v_add_co_u32_e32 v6, vcc, s0, v16
	v_addc_co_u32_e32 v7, vcc, 0, v4, vcc
	v_add_co_u32_e32 v4, vcc, s2, v15
	v_addc_co_u32_e32 v5, vcc, 0, v1, vcc
	v_cmp_lt_i32_e32 vcc, v2, v17
	v_cmp_lt_i32_e64 s[2:3], v8, v18
	v_cndmask_b32_e32 v3, v9, v2, vcc
	v_cndmask_b32_e32 v1, v10, v17, vcc
	v_max_i32_e32 v2, v2, v17
	v_cndmask_b32_e64 v10, v11, v8, s[2:3]
	v_min_i32_e32 v8, v8, v18
	v_cmp_lt_i32_e64 s[0:1], v8, v2
	v_cndmask_b32_e64 v2, v10, v2, s[0:1]
	v_cndmask_b32_e64 v8, v1, v8, s[0:1]
	v_lshlrev_b32_e32 v1, 2, v0
	v_and_b32_e32 v10, 0x1f8, v0
	v_cndmask_b32_e64 v9, v12, v18, s[2:3]
	s_waitcnt vmcnt(0)
	s_barrier
	ds_write2_b32 v1, v3, v8 offset1:1
	ds_write2_b32 v1, v2, v9 offset0:2 offset1:3
	v_or_b32_e32 v2, 4, v10
	v_add_u32_e32 v3, 8, v10
	v_and_b32_e32 v8, 4, v0
	v_sub_u32_e32 v12, v3, v2
	v_sub_u32_e32 v11, v2, v10
	;; [unrolled: 1-line block ×3, first 2 shown]
	v_cmp_ge_i32_e64 s[4:5], v8, v12
	v_cndmask_b32_e64 v12, 0, v16, s[4:5]
	v_min_i32_e32 v11, v8, v11
	v_lshlrev_b32_e32 v9, 2, v10
	v_cmp_lt_i32_e64 s[4:5], v12, v11
	s_waitcnt lgkmcnt(0)
	s_barrier
	s_and_saveexec_b64 s[6:7], s[4:5]
	s_cbranch_execz .LBB14_10
; %bb.7:
	v_lshlrev_b32_e32 v16, 2, v8
	v_lshl_add_u32 v16, v2, 2, v16
	s_mov_b64 s[8:9], 0
.LBB14_8:                               ; =>This Inner Loop Header: Depth=1
	v_sub_u32_e32 v17, v11, v12
	v_lshrrev_b32_e32 v17, 1, v17
	v_add_u32_e32 v17, v17, v12
	v_not_b32_e32 v19, v17
	v_lshl_add_u32 v18, v17, 2, v9
	v_lshl_add_u32 v19, v19, 2, v16
	ds_read_b32 v18, v18
	ds_read_b32 v19, v19
	v_add_u32_e32 v20, 1, v17
	s_waitcnt lgkmcnt(0)
	v_cmp_lt_i32_e64 s[4:5], v19, v18
	v_cndmask_b32_e64 v11, v11, v17, s[4:5]
	v_cndmask_b32_e64 v12, v20, v12, s[4:5]
	v_cmp_ge_i32_e64 s[4:5], v12, v11
	s_or_b64 s[8:9], s[4:5], s[8:9]
	s_andn2_b64 exec, exec, s[8:9]
	s_cbranch_execnz .LBB14_8
; %bb.9:
	s_or_b64 exec, exec, s[8:9]
.LBB14_10:
	s_or_b64 exec, exec, s[6:7]
	v_add_u32_e32 v8, v2, v8
	v_sub_u32_e32 v8, v8, v12
	v_lshl_add_u32 v16, v12, 2, v9
	v_lshlrev_b32_e32 v17, 2, v8
	ds_read_b32 v9, v16
	ds_read_b32 v11, v17
	v_add_u32_e32 v10, v12, v10
	v_cmp_le_i32_e64 s[6:7], v2, v10
	v_cmp_gt_i32_e64 s[4:5], v3, v8
                                        ; implicit-def: $vgpr12
	s_waitcnt lgkmcnt(0)
	v_cmp_lt_i32_e64 s[8:9], v11, v9
	s_or_b64 s[6:7], s[6:7], s[8:9]
	s_and_b64 s[4:5], s[4:5], s[6:7]
	s_xor_b64 s[6:7], s[4:5], -1
	s_and_saveexec_b64 s[8:9], s[6:7]
	s_xor_b64 s[6:7], exec, s[8:9]
; %bb.11:
	ds_read_b32 v12, v16 offset:4
                                        ; implicit-def: $vgpr17
; %bb.12:
	s_or_saveexec_b64 s[6:7], s[6:7]
	v_mov_b32_e32 v16, v11
	s_xor_b64 exec, exec, s[6:7]
	s_cbranch_execz .LBB14_14
; %bb.13:
	ds_read_b32 v16, v17 offset:4
	s_waitcnt lgkmcnt(1)
	v_mov_b32_e32 v12, v9
.LBB14_14:
	s_or_b64 exec, exec, s[6:7]
	v_add_u32_e32 v18, 1, v10
	v_add_u32_e32 v17, 1, v8
	v_cndmask_b32_e64 v18, v18, v10, s[4:5]
	v_cndmask_b32_e64 v17, v8, v17, s[4:5]
	v_cmp_ge_i32_e64 s[8:9], v18, v2
	s_waitcnt lgkmcnt(0)
	v_cmp_lt_i32_e64 s[10:11], v16, v12
	v_cmp_lt_i32_e64 s[6:7], v17, v3
	s_or_b64 s[8:9], s[8:9], s[10:11]
	s_and_b64 s[6:7], s[6:7], s[8:9]
	s_xor_b64 s[8:9], s[6:7], -1
                                        ; implicit-def: $vgpr19
	s_and_saveexec_b64 s[10:11], s[8:9]
	s_xor_b64 s[8:9], exec, s[10:11]
; %bb.15:
	v_lshlrev_b32_e32 v19, 2, v18
	ds_read_b32 v19, v19 offset:4
; %bb.16:
	s_or_saveexec_b64 s[8:9], s[8:9]
	v_mov_b32_e32 v20, v16
	s_xor_b64 exec, exec, s[8:9]
	s_cbranch_execz .LBB14_18
; %bb.17:
	s_waitcnt lgkmcnt(0)
	v_lshlrev_b32_e32 v19, 2, v17
	ds_read_b32 v20, v19 offset:4
	v_mov_b32_e32 v19, v12
.LBB14_18:
	s_or_b64 exec, exec, s[8:9]
	v_add_u32_e32 v23, 1, v18
	v_add_u32_e32 v21, 1, v17
	v_cndmask_b32_e64 v23, v23, v18, s[6:7]
	v_cndmask_b32_e64 v22, v17, v21, s[6:7]
	v_cmp_ge_i32_e64 s[10:11], v23, v2
	s_waitcnt lgkmcnt(0)
	v_cmp_lt_i32_e64 s[12:13], v20, v19
	v_cmp_lt_i32_e64 s[8:9], v22, v3
	s_or_b64 s[10:11], s[10:11], s[12:13]
	s_and_b64 s[8:9], s[8:9], s[10:11]
	s_xor_b64 s[10:11], s[8:9], -1
                                        ; implicit-def: $vgpr21
	s_and_saveexec_b64 s[12:13], s[10:11]
	s_xor_b64 s[10:11], exec, s[12:13]
; %bb.19:
	v_lshlrev_b32_e32 v21, 2, v23
	ds_read_b32 v21, v21 offset:4
; %bb.20:
	s_or_saveexec_b64 s[10:11], s[10:11]
	v_mov_b32_e32 v24, v20
	s_xor_b64 exec, exec, s[10:11]
	s_cbranch_execz .LBB14_22
; %bb.21:
	s_waitcnt lgkmcnt(0)
	v_lshlrev_b32_e32 v21, 2, v22
	ds_read_b32 v24, v21 offset:4
	v_mov_b32_e32 v21, v19
.LBB14_22:
	s_or_b64 exec, exec, s[10:11]
	v_cndmask_b32_e64 v11, v9, v11, s[4:5]
	v_cndmask_b32_e64 v8, v10, v8, s[4:5]
	v_alignbit_b32 v9, v13, v13, 16
	v_alignbit_b32 v10, v14, v14, 16
	v_cndmask_b32_e32 v9, v13, v9, vcc
	v_cndmask_b32_e64 v10, v14, v10, s[2:3]
	s_mov_b32 s2, 0x5040100
	v_add_u32_e32 v25, 1, v23
	v_perm_b32 v13, v10, v9, s2
	s_mov_b32 s2, 0x7060302
	v_cndmask_b32_e64 v19, v19, v20, s[8:9]
	v_add_u32_e32 v20, 1, v22
	v_cndmask_b32_e64 v25, v25, v23, s[8:9]
	v_perm_b32 v14, v10, v9, s2
	v_cndmask_b32_e64 v20, v22, v20, s[8:9]
	v_cndmask_b32_e64 v10, v10, v14, s[0:1]
	;; [unrolled: 1-line block ×3, first 2 shown]
	v_cmp_ge_i32_e64 s[0:1], v25, v2
	s_waitcnt lgkmcnt(0)
	v_cmp_lt_i32_e64 s[2:3], v24, v21
	v_cmp_lt_i32_e32 vcc, v20, v3
	s_or_b64 s[0:1], s[0:1], s[2:3]
	s_and_b64 vcc, vcc, s[0:1]
	v_cndmask_b32_e64 v22, v23, v22, s[8:9]
	v_cndmask_b32_e32 v2, v25, v20, vcc
	v_sub_u32_e32 v3, v1, v15
	v_cndmask_b32_e64 v12, v12, v16, s[6:7]
	v_cndmask_b32_e64 v16, v18, v17, s[6:7]
	s_barrier
	ds_write2_b32 v3, v9, v10 offset1:1
	v_lshlrev_b32_e32 v3, 1, v8
	v_lshlrev_b32_e32 v9, 1, v22
	;; [unrolled: 1-line block ×3, first 2 shown]
	s_waitcnt lgkmcnt(0)
	s_barrier
	v_lshlrev_b32_e32 v8, 1, v16
	ds_read_u16 v2, v3
	ds_read_u16 v3, v8
	;; [unrolled: 1-line block ×4, first 2 shown]
	v_and_b32_e32 v17, 0x1f0, v0
	v_cndmask_b32_e32 v13, v21, v24, vcc
	s_waitcnt lgkmcnt(0)
	s_barrier
	ds_write2_b32 v1, v11, v12 offset1:1
	ds_write2_b32 v1, v19, v13 offset0:2 offset1:3
	v_or_b32_e32 v8, 8, v17
	v_add_u32_e32 v11, 16, v17
	v_and_b32_e32 v13, 12, v0
	v_sub_u32_e32 v16, v11, v8
	v_sub_u32_e32 v12, v8, v17
	;; [unrolled: 1-line block ×3, first 2 shown]
	v_cmp_ge_i32_e32 vcc, v13, v16
	v_cndmask_b32_e32 v18, 0, v18, vcc
	v_min_i32_e32 v12, v13, v12
	v_lshlrev_b32_e32 v14, 2, v17
	v_cmp_lt_i32_e32 vcc, v18, v12
	s_waitcnt lgkmcnt(0)
	s_barrier
	s_and_saveexec_b64 s[0:1], vcc
	s_cbranch_execz .LBB14_26
; %bb.23:
	v_lshlrev_b32_e32 v16, 2, v13
	v_lshl_add_u32 v16, v8, 2, v16
	s_mov_b64 s[2:3], 0
.LBB14_24:                              ; =>This Inner Loop Header: Depth=1
	v_sub_u32_e32 v19, v12, v18
	v_lshrrev_b32_e32 v19, 1, v19
	v_add_u32_e32 v19, v19, v18
	v_not_b32_e32 v21, v19
	v_lshl_add_u32 v20, v19, 2, v14
	v_lshl_add_u32 v21, v21, 2, v16
	ds_read_b32 v20, v20
	ds_read_b32 v21, v21
	v_add_u32_e32 v22, 1, v19
	s_waitcnt lgkmcnt(0)
	v_cmp_lt_i32_e32 vcc, v21, v20
	v_cndmask_b32_e32 v12, v12, v19, vcc
	v_cndmask_b32_e32 v18, v22, v18, vcc
	v_cmp_ge_i32_e32 vcc, v18, v12
	s_or_b64 s[2:3], vcc, s[2:3]
	s_andn2_b64 exec, exec, s[2:3]
	s_cbranch_execnz .LBB14_24
; %bb.25:
	s_or_b64 exec, exec, s[2:3]
.LBB14_26:
	s_or_b64 exec, exec, s[0:1]
	v_add_u32_e32 v13, v8, v13
	v_sub_u32_e32 v13, v13, v18
	v_lshl_add_u32 v20, v18, 2, v14
	v_lshlrev_b32_e32 v19, 2, v13
	ds_read_b32 v14, v20
	ds_read_b32 v16, v19
	v_sub_u32_e32 v12, 0, v15
	v_add_u32_e32 v15, v18, v17
	v_cmp_le_i32_e64 s[0:1], v8, v15
	v_cmp_gt_i32_e32 vcc, v11, v13
	s_waitcnt lgkmcnt(0)
	v_cmp_lt_i32_e64 s[2:3], v16, v14
	s_or_b64 s[0:1], s[0:1], s[2:3]
	s_and_b64 vcc, vcc, s[0:1]
	s_xor_b64 s[0:1], vcc, -1
                                        ; implicit-def: $vgpr17
	s_and_saveexec_b64 s[2:3], s[0:1]
	s_xor_b64 s[0:1], exec, s[2:3]
; %bb.27:
	ds_read_b32 v17, v20 offset:4
                                        ; implicit-def: $vgpr19
; %bb.28:
	s_or_saveexec_b64 s[0:1], s[0:1]
	v_mov_b32_e32 v18, v16
	s_xor_b64 exec, exec, s[0:1]
	s_cbranch_execz .LBB14_30
; %bb.29:
	ds_read_b32 v18, v19 offset:4
	s_waitcnt lgkmcnt(1)
	v_mov_b32_e32 v17, v14
.LBB14_30:
	s_or_b64 exec, exec, s[0:1]
	v_add_u32_e32 v20, 1, v15
	v_add_u32_e32 v19, 1, v13
	v_cndmask_b32_e32 v20, v20, v15, vcc
	v_cndmask_b32_e32 v19, v13, v19, vcc
	v_cmp_ge_i32_e64 s[2:3], v20, v8
	s_waitcnt lgkmcnt(0)
	v_cmp_lt_i32_e64 s[4:5], v18, v17
	v_cmp_lt_i32_e64 s[0:1], v19, v11
	s_or_b64 s[2:3], s[2:3], s[4:5]
	s_and_b64 s[0:1], s[0:1], s[2:3]
	s_xor_b64 s[2:3], s[0:1], -1
                                        ; implicit-def: $vgpr21
	s_and_saveexec_b64 s[4:5], s[2:3]
	s_xor_b64 s[2:3], exec, s[4:5]
; %bb.31:
	v_lshlrev_b32_e32 v21, 2, v20
	ds_read_b32 v21, v21 offset:4
; %bb.32:
	s_or_saveexec_b64 s[2:3], s[2:3]
	v_mov_b32_e32 v22, v18
	s_xor_b64 exec, exec, s[2:3]
	s_cbranch_execz .LBB14_34
; %bb.33:
	s_waitcnt lgkmcnt(0)
	v_lshlrev_b32_e32 v21, 2, v19
	ds_read_b32 v22, v21 offset:4
	v_mov_b32_e32 v21, v17
.LBB14_34:
	s_or_b64 exec, exec, s[2:3]
	v_add_u32_e32 v24, 1, v20
	v_add_u32_e32 v23, 1, v19
	v_cndmask_b32_e64 v24, v24, v20, s[0:1]
	v_cndmask_b32_e64 v23, v19, v23, s[0:1]
	v_cmp_ge_i32_e64 s[4:5], v24, v8
	s_waitcnt lgkmcnt(0)
	v_cmp_lt_i32_e64 s[6:7], v22, v21
	v_cmp_lt_i32_e64 s[2:3], v23, v11
	s_or_b64 s[4:5], s[4:5], s[6:7]
	s_and_b64 s[2:3], s[2:3], s[4:5]
	s_xor_b64 s[4:5], s[2:3], -1
                                        ; implicit-def: $vgpr25
	s_and_saveexec_b64 s[6:7], s[4:5]
	s_xor_b64 s[4:5], exec, s[6:7]
; %bb.35:
	v_lshlrev_b32_e32 v25, 2, v24
	ds_read_b32 v25, v25 offset:4
; %bb.36:
	s_or_saveexec_b64 s[4:5], s[4:5]
	v_mov_b32_e32 v26, v22
	s_xor_b64 exec, exec, s[4:5]
	s_cbranch_execz .LBB14_38
; %bb.37:
	s_waitcnt lgkmcnt(0)
	v_lshlrev_b32_e32 v25, 2, v23
	ds_read_b32 v26, v25 offset:4
	v_mov_b32_e32 v25, v21
.LBB14_38:
	s_or_b64 exec, exec, s[4:5]
	v_add_u32_e32 v27, 1, v24
	v_cndmask_b32_e64 v21, v21, v22, s[2:3]
	v_add_u32_e32 v22, 1, v23
	v_cndmask_b32_e64 v27, v27, v24, s[2:3]
	v_cndmask_b32_e64 v22, v23, v22, s[2:3]
	;; [unrolled: 1-line block ×5, first 2 shown]
	v_cmp_ge_i32_e64 s[0:1], v27, v8
	s_waitcnt lgkmcnt(0)
	v_cmp_lt_i32_e64 s[2:3], v26, v25
	v_cndmask_b32_e32 v14, v14, v16, vcc
	v_cndmask_b32_e32 v13, v15, v13, vcc
	v_cmp_lt_i32_e32 vcc, v22, v11
	s_or_b64 s[0:1], s[0:1], s[2:3]
	s_and_b64 vcc, vcc, s[0:1]
	s_mov_b32 s0, 0x5040100
	v_cndmask_b32_e32 v15, v27, v22, vcc
	v_add_u32_e32 v8, v1, v12
	v_perm_b32 v9, v10, v9, s0
	v_perm_b32 v2, v3, v2, s0
	s_barrier
	ds_write2_b32 v8, v2, v9 offset1:1
	v_lshlrev_b32_e32 v2, 1, v13
	v_lshlrev_b32_e32 v3, 1, v18
	;; [unrolled: 1-line block ×4, first 2 shown]
	s_waitcnt lgkmcnt(0)
	s_barrier
	ds_read_u16 v2, v2
	ds_read_u16 v3, v3
	;; [unrolled: 1-line block ×4, first 2 shown]
	v_cndmask_b32_e32 v11, v25, v26, vcc
	v_and_b32_e32 v15, 0x1e0, v0
	s_waitcnt lgkmcnt(0)
	s_barrier
	ds_write2_b32 v1, v14, v17 offset1:1
	ds_write2_b32 v1, v21, v11 offset0:2 offset1:3
	v_or_b32_e32 v11, 16, v15
	v_add_u32_e32 v12, 32, v15
	v_and_b32_e32 v13, 28, v0
	v_sub_u32_e32 v17, v12, v11
	v_sub_u32_e32 v16, v11, v15
	;; [unrolled: 1-line block ×3, first 2 shown]
	v_cmp_ge_i32_e32 vcc, v13, v17
	v_cndmask_b32_e32 v17, 0, v18, vcc
	v_min_i32_e32 v16, v13, v16
	v_lshlrev_b32_e32 v14, 2, v15
	v_cmp_lt_i32_e32 vcc, v17, v16
	s_waitcnt lgkmcnt(0)
	s_barrier
	s_and_saveexec_b64 s[0:1], vcc
	s_cbranch_execz .LBB14_42
; %bb.39:
	v_lshlrev_b32_e32 v18, 2, v13
	v_lshl_add_u32 v18, v11, 2, v18
	s_mov_b64 s[2:3], 0
.LBB14_40:                              ; =>This Inner Loop Header: Depth=1
	v_sub_u32_e32 v19, v16, v17
	v_lshrrev_b32_e32 v19, 1, v19
	v_add_u32_e32 v19, v19, v17
	v_not_b32_e32 v21, v19
	v_lshl_add_u32 v20, v19, 2, v14
	v_lshl_add_u32 v21, v21, 2, v18
	ds_read_b32 v20, v20
	ds_read_b32 v21, v21
	v_add_u32_e32 v22, 1, v19
	s_waitcnt lgkmcnt(0)
	v_cmp_lt_i32_e32 vcc, v21, v20
	v_cndmask_b32_e32 v16, v16, v19, vcc
	v_cndmask_b32_e32 v17, v22, v17, vcc
	v_cmp_ge_i32_e32 vcc, v17, v16
	s_or_b64 s[2:3], vcc, s[2:3]
	s_andn2_b64 exec, exec, s[2:3]
	s_cbranch_execnz .LBB14_40
; %bb.41:
	s_or_b64 exec, exec, s[2:3]
.LBB14_42:
	s_or_b64 exec, exec, s[0:1]
	v_add_u32_e32 v13, v11, v13
	v_sub_u32_e32 v13, v13, v17
	v_lshl_add_u32 v18, v17, 2, v14
	v_lshlrev_b32_e32 v19, 2, v13
	ds_read_b32 v14, v18
	ds_read_b32 v16, v19
	v_add_u32_e32 v15, v17, v15
	v_cmp_le_i32_e64 s[0:1], v11, v15
	v_cmp_gt_i32_e32 vcc, v12, v13
                                        ; implicit-def: $vgpr17
	s_waitcnt lgkmcnt(0)
	v_cmp_lt_i32_e64 s[2:3], v16, v14
	s_or_b64 s[0:1], s[0:1], s[2:3]
	s_and_b64 vcc, vcc, s[0:1]
	s_xor_b64 s[0:1], vcc, -1
	s_and_saveexec_b64 s[2:3], s[0:1]
	s_xor_b64 s[0:1], exec, s[2:3]
; %bb.43:
	ds_read_b32 v17, v18 offset:4
                                        ; implicit-def: $vgpr19
; %bb.44:
	s_or_saveexec_b64 s[0:1], s[0:1]
	v_mov_b32_e32 v18, v16
	s_xor_b64 exec, exec, s[0:1]
	s_cbranch_execz .LBB14_46
; %bb.45:
	ds_read_b32 v18, v19 offset:4
	s_waitcnt lgkmcnt(1)
	v_mov_b32_e32 v17, v14
.LBB14_46:
	s_or_b64 exec, exec, s[0:1]
	v_add_u32_e32 v20, 1, v15
	v_add_u32_e32 v19, 1, v13
	v_cndmask_b32_e32 v20, v20, v15, vcc
	v_cndmask_b32_e32 v19, v13, v19, vcc
	v_cmp_ge_i32_e64 s[2:3], v20, v11
	s_waitcnt lgkmcnt(0)
	v_cmp_lt_i32_e64 s[4:5], v18, v17
	v_cmp_lt_i32_e64 s[0:1], v19, v12
	s_or_b64 s[2:3], s[2:3], s[4:5]
	s_and_b64 s[0:1], s[0:1], s[2:3]
	s_xor_b64 s[2:3], s[0:1], -1
                                        ; implicit-def: $vgpr21
	s_and_saveexec_b64 s[4:5], s[2:3]
	s_xor_b64 s[2:3], exec, s[4:5]
; %bb.47:
	v_lshlrev_b32_e32 v21, 2, v20
	ds_read_b32 v21, v21 offset:4
; %bb.48:
	s_or_saveexec_b64 s[2:3], s[2:3]
	v_mov_b32_e32 v22, v18
	s_xor_b64 exec, exec, s[2:3]
	s_cbranch_execz .LBB14_50
; %bb.49:
	s_waitcnt lgkmcnt(0)
	v_lshlrev_b32_e32 v21, 2, v19
	ds_read_b32 v22, v21 offset:4
	v_mov_b32_e32 v21, v17
.LBB14_50:
	s_or_b64 exec, exec, s[2:3]
	v_add_u32_e32 v24, 1, v20
	v_add_u32_e32 v23, 1, v19
	v_cndmask_b32_e64 v24, v24, v20, s[0:1]
	v_cndmask_b32_e64 v23, v19, v23, s[0:1]
	v_cmp_ge_i32_e64 s[4:5], v24, v11
	s_waitcnt lgkmcnt(0)
	v_cmp_lt_i32_e64 s[6:7], v22, v21
	v_cmp_lt_i32_e64 s[2:3], v23, v12
	s_or_b64 s[4:5], s[4:5], s[6:7]
	s_and_b64 s[2:3], s[2:3], s[4:5]
	s_xor_b64 s[4:5], s[2:3], -1
                                        ; implicit-def: $vgpr25
	s_and_saveexec_b64 s[6:7], s[4:5]
	s_xor_b64 s[4:5], exec, s[6:7]
; %bb.51:
	v_lshlrev_b32_e32 v25, 2, v24
	ds_read_b32 v25, v25 offset:4
; %bb.52:
	s_or_saveexec_b64 s[4:5], s[4:5]
	v_mov_b32_e32 v26, v22
	s_xor_b64 exec, exec, s[4:5]
	s_cbranch_execz .LBB14_54
; %bb.53:
	s_waitcnt lgkmcnt(0)
	v_lshlrev_b32_e32 v25, 2, v23
	ds_read_b32 v26, v25 offset:4
	v_mov_b32_e32 v25, v21
.LBB14_54:
	s_or_b64 exec, exec, s[4:5]
	v_add_u32_e32 v27, 1, v24
	v_cndmask_b32_e64 v21, v21, v22, s[2:3]
	v_add_u32_e32 v22, 1, v23
	v_cndmask_b32_e64 v27, v27, v24, s[2:3]
	v_cndmask_b32_e64 v22, v23, v22, s[2:3]
	;; [unrolled: 1-line block ×5, first 2 shown]
	v_cmp_ge_i32_e64 s[0:1], v27, v11
	s_waitcnt lgkmcnt(0)
	v_cmp_lt_i32_e64 s[2:3], v26, v25
	v_cndmask_b32_e32 v14, v14, v16, vcc
	v_cndmask_b32_e32 v13, v15, v13, vcc
	v_cmp_lt_i32_e32 vcc, v22, v12
	s_or_b64 s[0:1], s[0:1], s[2:3]
	s_and_b64 vcc, vcc, s[0:1]
	s_mov_b32 s0, 0x5040100
	v_cndmask_b32_e32 v12, v27, v22, vcc
	v_perm_b32 v9, v10, v9, s0
	v_perm_b32 v2, v3, v2, s0
	s_barrier
	ds_write2_b32 v8, v2, v9 offset1:1
	v_lshlrev_b32_e32 v2, 1, v13
	v_lshlrev_b32_e32 v3, 1, v18
	;; [unrolled: 1-line block ×4, first 2 shown]
	s_waitcnt lgkmcnt(0)
	s_barrier
	ds_read_u16 v2, v2
	ds_read_u16 v3, v3
	;; [unrolled: 1-line block ×4, first 2 shown]
	v_cndmask_b32_e32 v11, v25, v26, vcc
	v_and_b32_e32 v15, 0x1c0, v0
	s_waitcnt lgkmcnt(0)
	s_barrier
	ds_write2_b32 v1, v14, v17 offset1:1
	ds_write2_b32 v1, v21, v11 offset0:2 offset1:3
	v_or_b32_e32 v11, 32, v15
	v_add_u32_e32 v12, 64, v15
	v_and_b32_e32 v13, 60, v0
	v_sub_u32_e32 v17, v12, v11
	v_sub_u32_e32 v16, v11, v15
	;; [unrolled: 1-line block ×3, first 2 shown]
	v_cmp_ge_i32_e32 vcc, v13, v17
	v_cndmask_b32_e32 v17, 0, v18, vcc
	v_min_i32_e32 v16, v13, v16
	v_lshlrev_b32_e32 v14, 2, v15
	v_cmp_lt_i32_e32 vcc, v17, v16
	s_waitcnt lgkmcnt(0)
	s_barrier
	s_and_saveexec_b64 s[0:1], vcc
	s_cbranch_execz .LBB14_58
; %bb.55:
	v_lshlrev_b32_e32 v18, 2, v13
	v_lshl_add_u32 v18, v11, 2, v18
	s_mov_b64 s[2:3], 0
.LBB14_56:                              ; =>This Inner Loop Header: Depth=1
	v_sub_u32_e32 v19, v16, v17
	v_lshrrev_b32_e32 v19, 1, v19
	v_add_u32_e32 v19, v19, v17
	v_not_b32_e32 v21, v19
	v_lshl_add_u32 v20, v19, 2, v14
	v_lshl_add_u32 v21, v21, 2, v18
	ds_read_b32 v20, v20
	ds_read_b32 v21, v21
	v_add_u32_e32 v22, 1, v19
	s_waitcnt lgkmcnt(0)
	v_cmp_lt_i32_e32 vcc, v21, v20
	v_cndmask_b32_e32 v16, v16, v19, vcc
	v_cndmask_b32_e32 v17, v22, v17, vcc
	v_cmp_ge_i32_e32 vcc, v17, v16
	s_or_b64 s[2:3], vcc, s[2:3]
	s_andn2_b64 exec, exec, s[2:3]
	s_cbranch_execnz .LBB14_56
; %bb.57:
	s_or_b64 exec, exec, s[2:3]
.LBB14_58:
	s_or_b64 exec, exec, s[0:1]
	v_add_u32_e32 v13, v11, v13
	v_sub_u32_e32 v13, v13, v17
	v_lshl_add_u32 v18, v17, 2, v14
	v_lshlrev_b32_e32 v19, 2, v13
	ds_read_b32 v14, v18
	ds_read_b32 v16, v19
	v_add_u32_e32 v15, v17, v15
	v_cmp_le_i32_e64 s[0:1], v11, v15
	v_cmp_gt_i32_e32 vcc, v12, v13
                                        ; implicit-def: $vgpr17
	s_waitcnt lgkmcnt(0)
	v_cmp_lt_i32_e64 s[2:3], v16, v14
	s_or_b64 s[0:1], s[0:1], s[2:3]
	s_and_b64 vcc, vcc, s[0:1]
	s_xor_b64 s[0:1], vcc, -1
	s_and_saveexec_b64 s[2:3], s[0:1]
	s_xor_b64 s[0:1], exec, s[2:3]
; %bb.59:
	ds_read_b32 v17, v18 offset:4
                                        ; implicit-def: $vgpr19
; %bb.60:
	s_or_saveexec_b64 s[0:1], s[0:1]
	v_mov_b32_e32 v18, v16
	s_xor_b64 exec, exec, s[0:1]
	s_cbranch_execz .LBB14_62
; %bb.61:
	ds_read_b32 v18, v19 offset:4
	s_waitcnt lgkmcnt(1)
	v_mov_b32_e32 v17, v14
.LBB14_62:
	s_or_b64 exec, exec, s[0:1]
	v_add_u32_e32 v20, 1, v15
	v_add_u32_e32 v19, 1, v13
	v_cndmask_b32_e32 v20, v20, v15, vcc
	v_cndmask_b32_e32 v19, v13, v19, vcc
	v_cmp_ge_i32_e64 s[2:3], v20, v11
	s_waitcnt lgkmcnt(0)
	v_cmp_lt_i32_e64 s[4:5], v18, v17
	v_cmp_lt_i32_e64 s[0:1], v19, v12
	s_or_b64 s[2:3], s[2:3], s[4:5]
	s_and_b64 s[0:1], s[0:1], s[2:3]
	s_xor_b64 s[2:3], s[0:1], -1
                                        ; implicit-def: $vgpr21
	s_and_saveexec_b64 s[4:5], s[2:3]
	s_xor_b64 s[2:3], exec, s[4:5]
; %bb.63:
	v_lshlrev_b32_e32 v21, 2, v20
	ds_read_b32 v21, v21 offset:4
; %bb.64:
	s_or_saveexec_b64 s[2:3], s[2:3]
	v_mov_b32_e32 v22, v18
	s_xor_b64 exec, exec, s[2:3]
	s_cbranch_execz .LBB14_66
; %bb.65:
	s_waitcnt lgkmcnt(0)
	v_lshlrev_b32_e32 v21, 2, v19
	ds_read_b32 v22, v21 offset:4
	v_mov_b32_e32 v21, v17
.LBB14_66:
	s_or_b64 exec, exec, s[2:3]
	v_add_u32_e32 v24, 1, v20
	v_add_u32_e32 v23, 1, v19
	v_cndmask_b32_e64 v24, v24, v20, s[0:1]
	v_cndmask_b32_e64 v23, v19, v23, s[0:1]
	v_cmp_ge_i32_e64 s[4:5], v24, v11
	s_waitcnt lgkmcnt(0)
	v_cmp_lt_i32_e64 s[6:7], v22, v21
	v_cmp_lt_i32_e64 s[2:3], v23, v12
	s_or_b64 s[4:5], s[4:5], s[6:7]
	s_and_b64 s[2:3], s[2:3], s[4:5]
	s_xor_b64 s[4:5], s[2:3], -1
                                        ; implicit-def: $vgpr25
	s_and_saveexec_b64 s[6:7], s[4:5]
	s_xor_b64 s[4:5], exec, s[6:7]
; %bb.67:
	v_lshlrev_b32_e32 v25, 2, v24
	ds_read_b32 v25, v25 offset:4
; %bb.68:
	s_or_saveexec_b64 s[4:5], s[4:5]
	v_mov_b32_e32 v26, v22
	s_xor_b64 exec, exec, s[4:5]
	s_cbranch_execz .LBB14_70
; %bb.69:
	s_waitcnt lgkmcnt(0)
	v_lshlrev_b32_e32 v25, 2, v23
	ds_read_b32 v26, v25 offset:4
	v_mov_b32_e32 v25, v21
.LBB14_70:
	s_or_b64 exec, exec, s[4:5]
	v_add_u32_e32 v27, 1, v24
	v_cndmask_b32_e64 v21, v21, v22, s[2:3]
	v_add_u32_e32 v22, 1, v23
	v_cndmask_b32_e64 v27, v27, v24, s[2:3]
	v_cndmask_b32_e64 v22, v23, v22, s[2:3]
	;; [unrolled: 1-line block ×5, first 2 shown]
	v_cmp_ge_i32_e64 s[0:1], v27, v11
	s_waitcnt lgkmcnt(0)
	v_cmp_lt_i32_e64 s[2:3], v26, v25
	v_cndmask_b32_e32 v14, v14, v16, vcc
	v_cndmask_b32_e32 v13, v15, v13, vcc
	v_cmp_lt_i32_e32 vcc, v22, v12
	s_or_b64 s[0:1], s[0:1], s[2:3]
	s_and_b64 vcc, vcc, s[0:1]
	s_mov_b32 s0, 0x5040100
	v_cndmask_b32_e32 v12, v27, v22, vcc
	v_perm_b32 v9, v10, v9, s0
	v_perm_b32 v2, v3, v2, s0
	s_barrier
	ds_write2_b32 v8, v2, v9 offset1:1
	v_lshlrev_b32_e32 v2, 1, v13
	v_lshlrev_b32_e32 v3, 1, v18
	;; [unrolled: 1-line block ×4, first 2 shown]
	s_waitcnt lgkmcnt(0)
	s_barrier
	ds_read_u16 v2, v2
	ds_read_u16 v3, v3
	;; [unrolled: 1-line block ×4, first 2 shown]
	v_cndmask_b32_e32 v11, v25, v26, vcc
	v_and_b32_e32 v15, 0x180, v0
	s_waitcnt lgkmcnt(0)
	s_barrier
	ds_write2_b32 v1, v14, v17 offset1:1
	ds_write2_b32 v1, v21, v11 offset0:2 offset1:3
	v_or_b32_e32 v11, 64, v15
	v_add_u32_e32 v12, 0x80, v15
	v_and_b32_e32 v13, 0x7c, v0
	v_sub_u32_e32 v17, v12, v11
	v_sub_u32_e32 v16, v11, v15
	;; [unrolled: 1-line block ×3, first 2 shown]
	v_cmp_ge_i32_e32 vcc, v13, v17
	v_cndmask_b32_e32 v17, 0, v18, vcc
	v_min_i32_e32 v16, v13, v16
	v_lshlrev_b32_e32 v14, 2, v15
	v_cmp_lt_i32_e32 vcc, v17, v16
	s_waitcnt lgkmcnt(0)
	s_barrier
	s_and_saveexec_b64 s[0:1], vcc
	s_cbranch_execz .LBB14_74
; %bb.71:
	v_lshlrev_b32_e32 v18, 2, v13
	v_lshl_add_u32 v18, v11, 2, v18
	s_mov_b64 s[2:3], 0
.LBB14_72:                              ; =>This Inner Loop Header: Depth=1
	v_sub_u32_e32 v19, v16, v17
	v_lshrrev_b32_e32 v19, 1, v19
	v_add_u32_e32 v19, v19, v17
	v_not_b32_e32 v21, v19
	v_lshl_add_u32 v20, v19, 2, v14
	v_lshl_add_u32 v21, v21, 2, v18
	ds_read_b32 v20, v20
	ds_read_b32 v21, v21
	v_add_u32_e32 v22, 1, v19
	s_waitcnt lgkmcnt(0)
	v_cmp_lt_i32_e32 vcc, v21, v20
	v_cndmask_b32_e32 v16, v16, v19, vcc
	v_cndmask_b32_e32 v17, v22, v17, vcc
	v_cmp_ge_i32_e32 vcc, v17, v16
	s_or_b64 s[2:3], vcc, s[2:3]
	s_andn2_b64 exec, exec, s[2:3]
	s_cbranch_execnz .LBB14_72
; %bb.73:
	s_or_b64 exec, exec, s[2:3]
.LBB14_74:
	s_or_b64 exec, exec, s[0:1]
	v_add_u32_e32 v13, v11, v13
	v_sub_u32_e32 v13, v13, v17
	v_lshl_add_u32 v18, v17, 2, v14
	v_lshlrev_b32_e32 v19, 2, v13
	ds_read_b32 v14, v18
	ds_read_b32 v16, v19
	v_add_u32_e32 v15, v17, v15
	v_cmp_le_i32_e64 s[0:1], v11, v15
	v_cmp_gt_i32_e32 vcc, v12, v13
                                        ; implicit-def: $vgpr17
	s_waitcnt lgkmcnt(0)
	v_cmp_lt_i32_e64 s[2:3], v16, v14
	s_or_b64 s[0:1], s[0:1], s[2:3]
	s_and_b64 vcc, vcc, s[0:1]
	s_xor_b64 s[0:1], vcc, -1
	s_and_saveexec_b64 s[2:3], s[0:1]
	s_xor_b64 s[0:1], exec, s[2:3]
; %bb.75:
	ds_read_b32 v17, v18 offset:4
                                        ; implicit-def: $vgpr19
; %bb.76:
	s_or_saveexec_b64 s[0:1], s[0:1]
	v_mov_b32_e32 v18, v16
	s_xor_b64 exec, exec, s[0:1]
	s_cbranch_execz .LBB14_78
; %bb.77:
	ds_read_b32 v18, v19 offset:4
	s_waitcnt lgkmcnt(1)
	v_mov_b32_e32 v17, v14
.LBB14_78:
	s_or_b64 exec, exec, s[0:1]
	v_add_u32_e32 v20, 1, v15
	v_add_u32_e32 v19, 1, v13
	v_cndmask_b32_e32 v20, v20, v15, vcc
	v_cndmask_b32_e32 v19, v13, v19, vcc
	v_cmp_ge_i32_e64 s[2:3], v20, v11
	s_waitcnt lgkmcnt(0)
	v_cmp_lt_i32_e64 s[4:5], v18, v17
	v_cmp_lt_i32_e64 s[0:1], v19, v12
	s_or_b64 s[2:3], s[2:3], s[4:5]
	s_and_b64 s[0:1], s[0:1], s[2:3]
	s_xor_b64 s[2:3], s[0:1], -1
                                        ; implicit-def: $vgpr21
	s_and_saveexec_b64 s[4:5], s[2:3]
	s_xor_b64 s[2:3], exec, s[4:5]
; %bb.79:
	v_lshlrev_b32_e32 v21, 2, v20
	ds_read_b32 v21, v21 offset:4
; %bb.80:
	s_or_saveexec_b64 s[2:3], s[2:3]
	v_mov_b32_e32 v22, v18
	s_xor_b64 exec, exec, s[2:3]
	s_cbranch_execz .LBB14_82
; %bb.81:
	s_waitcnt lgkmcnt(0)
	v_lshlrev_b32_e32 v21, 2, v19
	ds_read_b32 v22, v21 offset:4
	v_mov_b32_e32 v21, v17
.LBB14_82:
	s_or_b64 exec, exec, s[2:3]
	v_add_u32_e32 v24, 1, v20
	v_add_u32_e32 v23, 1, v19
	v_cndmask_b32_e64 v24, v24, v20, s[0:1]
	v_cndmask_b32_e64 v23, v19, v23, s[0:1]
	v_cmp_ge_i32_e64 s[4:5], v24, v11
	s_waitcnt lgkmcnt(0)
	v_cmp_lt_i32_e64 s[6:7], v22, v21
	v_cmp_lt_i32_e64 s[2:3], v23, v12
	s_or_b64 s[4:5], s[4:5], s[6:7]
	s_and_b64 s[2:3], s[2:3], s[4:5]
	s_xor_b64 s[4:5], s[2:3], -1
                                        ; implicit-def: $vgpr25
	s_and_saveexec_b64 s[6:7], s[4:5]
	s_xor_b64 s[4:5], exec, s[6:7]
; %bb.83:
	v_lshlrev_b32_e32 v25, 2, v24
	ds_read_b32 v25, v25 offset:4
; %bb.84:
	s_or_saveexec_b64 s[4:5], s[4:5]
	v_mov_b32_e32 v26, v22
	s_xor_b64 exec, exec, s[4:5]
	s_cbranch_execz .LBB14_86
; %bb.85:
	s_waitcnt lgkmcnt(0)
	v_lshlrev_b32_e32 v25, 2, v23
	ds_read_b32 v26, v25 offset:4
	v_mov_b32_e32 v25, v21
.LBB14_86:
	s_or_b64 exec, exec, s[4:5]
	v_add_u32_e32 v27, 1, v24
	v_cndmask_b32_e64 v21, v21, v22, s[2:3]
	v_add_u32_e32 v22, 1, v23
	v_cndmask_b32_e64 v27, v27, v24, s[2:3]
	v_cndmask_b32_e64 v22, v23, v22, s[2:3]
	;; [unrolled: 1-line block ×5, first 2 shown]
	v_cmp_ge_i32_e64 s[0:1], v27, v11
	s_waitcnt lgkmcnt(0)
	v_cmp_lt_i32_e64 s[2:3], v26, v25
	v_cndmask_b32_e32 v14, v14, v16, vcc
	v_cndmask_b32_e32 v13, v15, v13, vcc
	v_cmp_lt_i32_e32 vcc, v22, v12
	s_or_b64 s[0:1], s[0:1], s[2:3]
	s_and_b64 vcc, vcc, s[0:1]
	s_mov_b32 s0, 0x5040100
	v_cndmask_b32_e32 v12, v27, v22, vcc
	v_perm_b32 v9, v10, v9, s0
	v_perm_b32 v2, v3, v2, s0
	s_barrier
	ds_write2_b32 v8, v2, v9 offset1:1
	v_lshlrev_b32_e32 v2, 1, v13
	v_lshlrev_b32_e32 v3, 1, v18
	;; [unrolled: 1-line block ×4, first 2 shown]
	s_waitcnt lgkmcnt(0)
	s_barrier
	ds_read_u16 v2, v2
	ds_read_u16 v3, v3
	;; [unrolled: 1-line block ×4, first 2 shown]
	v_cndmask_b32_e32 v11, v25, v26, vcc
	v_and_b32_e32 v15, 0x100, v0
	s_waitcnt lgkmcnt(0)
	s_barrier
	ds_write2_b32 v1, v14, v17 offset1:1
	ds_write2_b32 v1, v21, v11 offset0:2 offset1:3
	v_or_b32_e32 v11, 0x80, v15
	v_add_u32_e32 v12, 0x100, v15
	v_and_b32_e32 v13, 0xfc, v0
	v_sub_u32_e32 v17, v12, v11
	v_sub_u32_e32 v16, v11, v15
	;; [unrolled: 1-line block ×3, first 2 shown]
	v_cmp_ge_i32_e32 vcc, v13, v17
	v_cndmask_b32_e32 v17, 0, v18, vcc
	v_min_i32_e32 v16, v13, v16
	v_lshlrev_b32_e32 v14, 2, v15
	v_cmp_lt_i32_e32 vcc, v17, v16
	s_waitcnt lgkmcnt(0)
	s_barrier
	s_and_saveexec_b64 s[0:1], vcc
	s_cbranch_execz .LBB14_90
; %bb.87:
	v_lshlrev_b32_e32 v18, 2, v13
	v_lshl_add_u32 v18, v11, 2, v18
	s_mov_b64 s[2:3], 0
.LBB14_88:                              ; =>This Inner Loop Header: Depth=1
	v_sub_u32_e32 v19, v16, v17
	v_lshrrev_b32_e32 v19, 1, v19
	v_add_u32_e32 v19, v19, v17
	v_not_b32_e32 v21, v19
	v_lshl_add_u32 v20, v19, 2, v14
	v_lshl_add_u32 v21, v21, 2, v18
	ds_read_b32 v20, v20
	ds_read_b32 v21, v21
	v_add_u32_e32 v22, 1, v19
	s_waitcnt lgkmcnt(0)
	v_cmp_lt_i32_e32 vcc, v21, v20
	v_cndmask_b32_e32 v16, v16, v19, vcc
	v_cndmask_b32_e32 v17, v22, v17, vcc
	v_cmp_ge_i32_e32 vcc, v17, v16
	s_or_b64 s[2:3], vcc, s[2:3]
	s_andn2_b64 exec, exec, s[2:3]
	s_cbranch_execnz .LBB14_88
; %bb.89:
	s_or_b64 exec, exec, s[2:3]
.LBB14_90:
	s_or_b64 exec, exec, s[0:1]
	v_add_u32_e32 v13, v11, v13
	v_sub_u32_e32 v13, v13, v17
	v_lshl_add_u32 v18, v17, 2, v14
	v_lshlrev_b32_e32 v19, 2, v13
	ds_read_b32 v14, v18
	ds_read_b32 v16, v19
	v_add_u32_e32 v15, v17, v15
	v_cmp_le_i32_e64 s[0:1], v11, v15
	v_cmp_gt_i32_e32 vcc, v12, v13
                                        ; implicit-def: $vgpr17
	s_waitcnt lgkmcnt(0)
	v_cmp_lt_i32_e64 s[2:3], v16, v14
	s_or_b64 s[0:1], s[0:1], s[2:3]
	s_and_b64 vcc, vcc, s[0:1]
	s_xor_b64 s[0:1], vcc, -1
	s_and_saveexec_b64 s[2:3], s[0:1]
	s_xor_b64 s[0:1], exec, s[2:3]
; %bb.91:
	ds_read_b32 v17, v18 offset:4
                                        ; implicit-def: $vgpr19
; %bb.92:
	s_or_saveexec_b64 s[0:1], s[0:1]
	v_mov_b32_e32 v18, v16
	s_xor_b64 exec, exec, s[0:1]
	s_cbranch_execz .LBB14_94
; %bb.93:
	ds_read_b32 v18, v19 offset:4
	s_waitcnt lgkmcnt(1)
	v_mov_b32_e32 v17, v14
.LBB14_94:
	s_or_b64 exec, exec, s[0:1]
	v_add_u32_e32 v20, 1, v15
	v_add_u32_e32 v19, 1, v13
	v_cndmask_b32_e32 v20, v20, v15, vcc
	v_cndmask_b32_e32 v19, v13, v19, vcc
	v_cmp_ge_i32_e64 s[2:3], v20, v11
	s_waitcnt lgkmcnt(0)
	v_cmp_lt_i32_e64 s[4:5], v18, v17
	v_cmp_lt_i32_e64 s[0:1], v19, v12
	s_or_b64 s[2:3], s[2:3], s[4:5]
	s_and_b64 s[0:1], s[0:1], s[2:3]
	s_xor_b64 s[2:3], s[0:1], -1
                                        ; implicit-def: $vgpr21
	s_and_saveexec_b64 s[4:5], s[2:3]
	s_xor_b64 s[2:3], exec, s[4:5]
; %bb.95:
	v_lshlrev_b32_e32 v21, 2, v20
	ds_read_b32 v21, v21 offset:4
; %bb.96:
	s_or_saveexec_b64 s[2:3], s[2:3]
	v_mov_b32_e32 v22, v18
	s_xor_b64 exec, exec, s[2:3]
	s_cbranch_execz .LBB14_98
; %bb.97:
	s_waitcnt lgkmcnt(0)
	v_lshlrev_b32_e32 v21, 2, v19
	ds_read_b32 v22, v21 offset:4
	v_mov_b32_e32 v21, v17
.LBB14_98:
	s_or_b64 exec, exec, s[2:3]
	v_add_u32_e32 v24, 1, v20
	v_add_u32_e32 v23, 1, v19
	v_cndmask_b32_e64 v24, v24, v20, s[0:1]
	v_cndmask_b32_e64 v23, v19, v23, s[0:1]
	v_cmp_ge_i32_e64 s[4:5], v24, v11
	s_waitcnt lgkmcnt(0)
	v_cmp_lt_i32_e64 s[6:7], v22, v21
	v_cmp_lt_i32_e64 s[2:3], v23, v12
	s_or_b64 s[4:5], s[4:5], s[6:7]
	s_and_b64 s[2:3], s[2:3], s[4:5]
	s_xor_b64 s[4:5], s[2:3], -1
                                        ; implicit-def: $vgpr25
	s_and_saveexec_b64 s[6:7], s[4:5]
	s_xor_b64 s[4:5], exec, s[6:7]
; %bb.99:
	v_lshlrev_b32_e32 v25, 2, v24
	ds_read_b32 v25, v25 offset:4
; %bb.100:
	s_or_saveexec_b64 s[4:5], s[4:5]
	v_mov_b32_e32 v26, v22
	s_xor_b64 exec, exec, s[4:5]
	s_cbranch_execz .LBB14_102
; %bb.101:
	s_waitcnt lgkmcnt(0)
	v_lshlrev_b32_e32 v25, 2, v23
	ds_read_b32 v26, v25 offset:4
	v_mov_b32_e32 v25, v21
.LBB14_102:
	s_or_b64 exec, exec, s[4:5]
	v_add_u32_e32 v27, 1, v24
	v_cndmask_b32_e64 v21, v21, v22, s[2:3]
	v_add_u32_e32 v22, 1, v23
	v_cndmask_b32_e64 v27, v27, v24, s[2:3]
	v_cndmask_b32_e64 v22, v23, v22, s[2:3]
	;; [unrolled: 1-line block ×5, first 2 shown]
	v_cmp_ge_i32_e64 s[0:1], v27, v11
	s_waitcnt lgkmcnt(0)
	v_cmp_lt_i32_e64 s[2:3], v26, v25
	v_cndmask_b32_e32 v14, v14, v16, vcc
	v_cndmask_b32_e32 v13, v15, v13, vcc
	v_cmp_lt_i32_e32 vcc, v22, v12
	s_or_b64 s[0:1], s[0:1], s[2:3]
	s_and_b64 vcc, vcc, s[0:1]
	s_mov_b32 s0, 0x5040100
	v_perm_b32 v9, v10, v9, s0
	v_perm_b32 v2, v3, v2, s0
	v_cndmask_b32_e32 v11, v27, v22, vcc
	s_barrier
	ds_write2_b32 v8, v2, v9 offset1:1
	v_lshlrev_b32_e32 v2, 1, v13
	v_lshlrev_b32_e32 v12, 1, v23
	s_waitcnt lgkmcnt(0)
	s_barrier
	v_lshlrev_b32_e32 v3, 1, v18
	v_lshlrev_b32_e32 v13, 1, v11
	ds_read_u16 v9, v2
	ds_read_u16 v10, v3
	;; [unrolled: 1-line block ×4, first 2 shown]
	v_and_b32_e32 v2, 0x1fc, v0
	v_mov_b32_e32 v0, 0x100
	v_cndmask_b32_e32 v15, v25, v26, vcc
	s_waitcnt lgkmcnt(0)
	s_barrier
	ds_write2_b32 v1, v14, v17 offset1:1
	ds_write2_b32 v1, v21, v15 offset0:2 offset1:3
	v_sub_u32_e64 v1, v2, v0 clamp
	v_min_i32_e32 v3, 0x100, v2
	v_cmp_lt_i32_e32 vcc, v1, v3
	s_waitcnt lgkmcnt(0)
	s_barrier
	s_and_saveexec_b64 s[0:1], vcc
	s_cbranch_execz .LBB14_106
; %bb.103:
	v_lshlrev_b32_e32 v13, 2, v2
	v_lshl_add_u32 v13, v0, 2, v13
	s_mov_b64 s[2:3], 0
.LBB14_104:                             ; =>This Inner Loop Header: Depth=1
	v_sub_u32_e32 v14, v3, v1
	v_lshrrev_b32_e32 v14, 1, v14
	v_add_u32_e32 v14, v14, v1
	v_not_b32_e32 v16, v14
	v_lshlrev_b32_e32 v15, 2, v14
	v_lshl_add_u32 v16, v16, 2, v13
	ds_read_b32 v15, v15
	ds_read_b32 v16, v16
	v_add_u32_e32 v17, 1, v14
	s_waitcnt lgkmcnt(0)
	v_cmp_lt_i32_e32 vcc, v16, v15
	v_cndmask_b32_e32 v3, v3, v14, vcc
	v_cndmask_b32_e32 v1, v17, v1, vcc
	v_cmp_ge_i32_e32 vcc, v1, v3
	s_or_b64 s[2:3], vcc, s[2:3]
	s_andn2_b64 exec, exec, s[2:3]
	s_cbranch_execnz .LBB14_104
; %bb.105:
	s_or_b64 exec, exec, s[2:3]
.LBB14_106:
	s_or_b64 exec, exec, s[0:1]
	v_add_u32_e32 v2, 0x100, v2
	v_sub_u32_e32 v3, v2, v1
	v_lshlrev_b32_e32 v16, 2, v1
	v_lshlrev_b32_e32 v2, 2, v3
	ds_read_b32 v13, v16
	ds_read_b32 v14, v2
	s_movk_i32 s0, 0x200
	v_cmp_gt_i32_e32 vcc, s0, v3
	v_cmp_le_i32_e64 s[0:1], v0, v1
                                        ; implicit-def: $vgpr15
	s_waitcnt lgkmcnt(0)
	v_cmp_lt_i32_e64 s[2:3], v14, v13
	s_or_b64 s[0:1], s[0:1], s[2:3]
	s_and_b64 vcc, vcc, s[0:1]
	s_xor_b64 s[0:1], vcc, -1
	s_and_saveexec_b64 s[2:3], s[0:1]
	s_xor_b64 s[0:1], exec, s[2:3]
; %bb.107:
	ds_read_b32 v15, v16 offset:4
                                        ; implicit-def: $vgpr2
; %bb.108:
	s_or_saveexec_b64 s[0:1], s[0:1]
	v_mov_b32_e32 v16, v14
	s_xor_b64 exec, exec, s[0:1]
	s_cbranch_execz .LBB14_110
; %bb.109:
	ds_read_b32 v16, v2 offset:4
	s_waitcnt lgkmcnt(1)
	v_mov_b32_e32 v15, v13
.LBB14_110:
	s_or_b64 exec, exec, s[0:1]
	v_add_u32_e32 v18, 1, v1
	v_add_u32_e32 v2, 1, v3
	v_cndmask_b32_e32 v18, v18, v1, vcc
	v_cndmask_b32_e32 v17, v3, v2, vcc
	s_movk_i32 s0, 0x200
	v_cmp_ge_i32_e64 s[2:3], v18, v0
	s_waitcnt lgkmcnt(0)
	v_cmp_lt_i32_e64 s[4:5], v16, v15
	v_cmp_gt_i32_e64 s[0:1], s0, v17
	s_or_b64 s[2:3], s[2:3], s[4:5]
	s_and_b64 s[0:1], s[0:1], s[2:3]
	s_xor_b64 s[2:3], s[0:1], -1
                                        ; implicit-def: $vgpr20
	s_and_saveexec_b64 s[4:5], s[2:3]
	s_xor_b64 s[2:3], exec, s[4:5]
; %bb.111:
	v_lshlrev_b32_e32 v2, 2, v18
	ds_read_b32 v20, v2 offset:4
; %bb.112:
	s_or_saveexec_b64 s[2:3], s[2:3]
	v_mov_b32_e32 v19, v16
	s_xor_b64 exec, exec, s[2:3]
	s_cbranch_execz .LBB14_114
; %bb.113:
	v_lshlrev_b32_e32 v2, 2, v17
	ds_read_b32 v19, v2 offset:4
	s_waitcnt lgkmcnt(1)
	v_mov_b32_e32 v20, v15
.LBB14_114:
	s_or_b64 exec, exec, s[2:3]
	v_add_u32_e32 v22, 1, v18
	v_add_u32_e32 v2, 1, v17
	v_cndmask_b32_e64 v24, v22, v18, s[0:1]
	v_cndmask_b32_e64 v21, v17, v2, s[0:1]
	s_movk_i32 s2, 0x1ff
	v_cmp_lt_i32_e64 s[4:5], v24, v0
	s_waitcnt lgkmcnt(0)
	v_cmp_ge_i32_e64 s[6:7], v19, v20
	v_cmp_lt_i32_e64 s[2:3], s2, v21
	s_and_b64 s[4:5], s[4:5], s[6:7]
	s_or_b64 s[2:3], s[2:3], s[4:5]
                                        ; implicit-def: $vgpr23
                                        ; implicit-def: $vgpr22
	s_and_saveexec_b64 s[4:5], s[2:3]
	s_xor_b64 s[2:3], exec, s[4:5]
; %bb.115:
	v_lshlrev_b32_e32 v2, 2, v24
	ds_read_b32 v23, v2 offset:4
	v_add_u32_e32 v22, 1, v24
; %bb.116:
	s_or_saveexec_b64 s[2:3], s[2:3]
	v_mov_b32_e32 v2, v20
	v_mov_b32_e32 v25, v24
	s_xor_b64 exec, exec, s[2:3]
	s_cbranch_execz .LBB14_118
; %bb.117:
	v_lshlrev_b32_e32 v2, 2, v21
	ds_read_b32 v26, v2 offset:4
	s_waitcnt lgkmcnt(1)
	v_add_u32_e32 v23, 1, v21
	v_mov_b32_e32 v2, v19
	v_mov_b32_e32 v25, v21
	;; [unrolled: 1-line block ×5, first 2 shown]
	s_waitcnt lgkmcnt(0)
	v_mov_b32_e32 v19, v26
.LBB14_118:
	s_or_b64 exec, exec, s[2:3]
	s_movk_i32 s2, 0x200
	v_cmp_ge_i32_e64 s[4:5], v22, v0
	s_waitcnt lgkmcnt(0)
	v_cmp_lt_i32_e64 s[6:7], v19, v23
	v_cmp_gt_i32_e64 s[2:3], s2, v21
	s_or_b64 s[4:5], s[4:5], s[6:7]
	s_and_b64 s[2:3], s[2:3], s[4:5]
	v_cndmask_b32_e32 v1, v1, v3, vcc
	v_cndmask_b32_e64 v3, v23, v19, s[2:3]
	v_cndmask_b32_e64 v0, v22, v21, s[2:3]
	s_mov_b32 s2, 0x5040100
	v_cndmask_b32_e64 v17, v18, v17, s[0:1]
	v_perm_b32 v11, v12, v11, s2
	v_perm_b32 v9, v10, v9, s2
	s_barrier
	ds_write2_b32 v8, v9, v11 offset1:1
	v_lshlrev_b32_e32 v1, 1, v1
	v_lshlrev_b32_e32 v8, 1, v17
	;; [unrolled: 1-line block ×3, first 2 shown]
	s_waitcnt lgkmcnt(0)
	s_barrier
	v_lshlrev_b32_e32 v0, 1, v0
	ds_read_u16 v10, v1
	ds_read_u16 v8, v8
	;; [unrolled: 1-line block ×4, first 2 shown]
	v_cndmask_b32_e64 v1, v15, v16, s[0:1]
	v_cndmask_b32_e32 v0, v13, v14, vcc
	global_store_dwordx4 v[6:7], v[0:3], off
	s_waitcnt lgkmcnt(2)
	v_perm_b32 v0, v8, v10, s2
	s_waitcnt lgkmcnt(0)
	v_perm_b32 v1, v11, v9, s2
	global_store_dwordx2 v[4:5], v[0:1], off
	s_endpgm
	.section	.rodata,"a",@progbits
	.p2align	6, 0x0
	.amdhsa_kernel _Z21sort_key_value_kernelILj128ELj4EisN10test_utils4lessEEvPT1_PT2_T3_
		.amdhsa_group_segment_fixed_size 2052
		.amdhsa_private_segment_fixed_size 0
		.amdhsa_kernarg_size 20
		.amdhsa_user_sgpr_count 6
		.amdhsa_user_sgpr_private_segment_buffer 1
		.amdhsa_user_sgpr_dispatch_ptr 0
		.amdhsa_user_sgpr_queue_ptr 0
		.amdhsa_user_sgpr_kernarg_segment_ptr 1
		.amdhsa_user_sgpr_dispatch_id 0
		.amdhsa_user_sgpr_flat_scratch_init 0
		.amdhsa_user_sgpr_private_segment_size 0
		.amdhsa_uses_dynamic_stack 0
		.amdhsa_system_sgpr_private_segment_wavefront_offset 0
		.amdhsa_system_sgpr_workgroup_id_x 1
		.amdhsa_system_sgpr_workgroup_id_y 0
		.amdhsa_system_sgpr_workgroup_id_z 0
		.amdhsa_system_sgpr_workgroup_info 0
		.amdhsa_system_vgpr_workitem_id 0
		.amdhsa_next_free_vgpr 29
		.amdhsa_next_free_sgpr 61
		.amdhsa_reserve_vcc 1
		.amdhsa_reserve_flat_scratch 0
		.amdhsa_float_round_mode_32 0
		.amdhsa_float_round_mode_16_64 0
		.amdhsa_float_denorm_mode_32 3
		.amdhsa_float_denorm_mode_16_64 3
		.amdhsa_dx10_clamp 1
		.amdhsa_ieee_mode 1
		.amdhsa_fp16_overflow 0
		.amdhsa_exception_fp_ieee_invalid_op 0
		.amdhsa_exception_fp_denorm_src 0
		.amdhsa_exception_fp_ieee_div_zero 0
		.amdhsa_exception_fp_ieee_overflow 0
		.amdhsa_exception_fp_ieee_underflow 0
		.amdhsa_exception_fp_ieee_inexact 0
		.amdhsa_exception_int_div_zero 0
	.end_amdhsa_kernel
	.section	.text._Z21sort_key_value_kernelILj128ELj4EisN10test_utils4lessEEvPT1_PT2_T3_,"axG",@progbits,_Z21sort_key_value_kernelILj128ELj4EisN10test_utils4lessEEvPT1_PT2_T3_,comdat
.Lfunc_end14:
	.size	_Z21sort_key_value_kernelILj128ELj4EisN10test_utils4lessEEvPT1_PT2_T3_, .Lfunc_end14-_Z21sort_key_value_kernelILj128ELj4EisN10test_utils4lessEEvPT1_PT2_T3_
                                        ; -- End function
	.set _Z21sort_key_value_kernelILj128ELj4EisN10test_utils4lessEEvPT1_PT2_T3_.num_vgpr, 28
	.set _Z21sort_key_value_kernelILj128ELj4EisN10test_utils4lessEEvPT1_PT2_T3_.num_agpr, 0
	.set _Z21sort_key_value_kernelILj128ELj4EisN10test_utils4lessEEvPT1_PT2_T3_.numbered_sgpr, 14
	.set _Z21sort_key_value_kernelILj128ELj4EisN10test_utils4lessEEvPT1_PT2_T3_.num_named_barrier, 0
	.set _Z21sort_key_value_kernelILj128ELj4EisN10test_utils4lessEEvPT1_PT2_T3_.private_seg_size, 0
	.set _Z21sort_key_value_kernelILj128ELj4EisN10test_utils4lessEEvPT1_PT2_T3_.uses_vcc, 1
	.set _Z21sort_key_value_kernelILj128ELj4EisN10test_utils4lessEEvPT1_PT2_T3_.uses_flat_scratch, 0
	.set _Z21sort_key_value_kernelILj128ELj4EisN10test_utils4lessEEvPT1_PT2_T3_.has_dyn_sized_stack, 0
	.set _Z21sort_key_value_kernelILj128ELj4EisN10test_utils4lessEEvPT1_PT2_T3_.has_recursion, 0
	.set _Z21sort_key_value_kernelILj128ELj4EisN10test_utils4lessEEvPT1_PT2_T3_.has_indirect_call, 0
	.section	.AMDGPU.csdata,"",@progbits
; Kernel info:
; codeLenInByte = 5924
; TotalNumSgprs: 18
; NumVgprs: 28
; ScratchSize: 0
; MemoryBound: 0
; FloatMode: 240
; IeeeMode: 1
; LDSByteSize: 2052 bytes/workgroup (compile time only)
; SGPRBlocks: 8
; VGPRBlocks: 7
; NumSGPRsForWavesPerEU: 65
; NumVGPRsForWavesPerEU: 29
; Occupancy: 8
; WaveLimiterHint : 0
; COMPUTE_PGM_RSRC2:SCRATCH_EN: 0
; COMPUTE_PGM_RSRC2:USER_SGPR: 6
; COMPUTE_PGM_RSRC2:TRAP_HANDLER: 0
; COMPUTE_PGM_RSRC2:TGID_X_EN: 1
; COMPUTE_PGM_RSRC2:TGID_Y_EN: 0
; COMPUTE_PGM_RSRC2:TGID_Z_EN: 0
; COMPUTE_PGM_RSRC2:TIDIG_COMP_CNT: 0
	.section	.text._Z21sort_key_value_kernelILj64ELj2E12hip_bfloat16S0_N10test_utils7greaterEEvPT1_PT2_T3_,"axG",@progbits,_Z21sort_key_value_kernelILj64ELj2E12hip_bfloat16S0_N10test_utils7greaterEEvPT1_PT2_T3_,comdat
	.protected	_Z21sort_key_value_kernelILj64ELj2E12hip_bfloat16S0_N10test_utils7greaterEEvPT1_PT2_T3_ ; -- Begin function _Z21sort_key_value_kernelILj64ELj2E12hip_bfloat16S0_N10test_utils7greaterEEvPT1_PT2_T3_
	.globl	_Z21sort_key_value_kernelILj64ELj2E12hip_bfloat16S0_N10test_utils7greaterEEvPT1_PT2_T3_
	.p2align	8
	.type	_Z21sort_key_value_kernelILj64ELj2E12hip_bfloat16S0_N10test_utils7greaterEEvPT1_PT2_T3_,@function
_Z21sort_key_value_kernelILj64ELj2E12hip_bfloat16S0_N10test_utils7greaterEEvPT1_PT2_T3_: ; @_Z21sort_key_value_kernelILj64ELj2E12hip_bfloat16S0_N10test_utils7greaterEEvPT1_PT2_T3_
; %bb.0:
	s_load_dwordx4 s[0:3], s[4:5], 0x0
	s_lshl_b32 s4, s6, 7
	s_mov_b32 s5, 0
	s_lshl_b64 s[4:5], s[4:5], 1
	v_lshlrev_b32_e32 v4, 2, v0
	s_waitcnt lgkmcnt(0)
	s_add_u32 s0, s0, s4
	s_addc_u32 s1, s1, s5
	global_load_dword v14, v4, s[0:1]
	s_add_u32 s2, s2, s4
	s_addc_u32 s3, s3, s5
	global_load_dword v6, v4, s[2:3]
	v_lshlrev_b32_e32 v5, 1, v0
	v_and_b32_e32 v9, 0x7c, v5
	v_or_b32_e32 v7, 2, v9
	v_add_u32_e32 v8, 4, v9
	v_and_b32_e32 v10, 2, v5
	v_sub_u32_e32 v1, v8, v7
	v_sub_u32_e32 v0, v7, v9
	;; [unrolled: 1-line block ×3, first 2 shown]
	v_cmp_ge_i32_e32 vcc, v10, v1
	v_min_i32_e32 v13, v10, v0
	v_cndmask_b32_e32 v12, 0, v2, vcc
	v_mov_b32_e32 v1, s1
	v_add_co_u32_e32 v0, vcc, s0, v4
	v_addc_co_u32_e32 v1, vcc, 0, v1, vcc
	v_mov_b32_e32 v3, s3
	v_add_co_u32_e32 v2, vcc, s2, v4
	v_addc_co_u32_e32 v3, vcc, 0, v3, vcc
	v_lshlrev_b32_e32 v11, 1, v9
	v_cmp_lt_i32_e64 s[0:1], v12, v13
	s_waitcnt vmcnt(1)
	; wave barrier
	v_and_b32_e32 v16, 0xffff0000, v14
	v_lshlrev_b32_e32 v17, 16, v14
	v_alignbit_b32 v15, v14, v14, 16
	v_cmp_lt_f32_e32 vcc, v17, v16
	v_cndmask_b32_e32 v14, v14, v15, vcc
	ds_write_b32 v4, v14
	s_waitcnt lgkmcnt(0)
	; wave barrier
	s_and_saveexec_b64 s[2:3], s[0:1]
	s_cbranch_execz .LBB15_4
; %bb.1:
	v_lshlrev_b32_e32 v14, 1, v10
	v_lshl_add_u32 v14, v7, 1, v14
	s_mov_b64 s[4:5], 0
.LBB15_2:                               ; =>This Inner Loop Header: Depth=1
	v_sub_u32_e32 v15, v13, v12
	v_lshrrev_b32_e32 v15, 1, v15
	v_add_u32_e32 v15, v15, v12
	v_not_b32_e32 v17, v15
	v_lshl_add_u32 v16, v15, 1, v11
	v_lshl_add_u32 v17, v17, 1, v14
	ds_read_u16 v16, v16
	ds_read_u16 v17, v17
	v_add_u32_e32 v18, 1, v15
	s_waitcnt lgkmcnt(1)
	v_lshlrev_b32_e32 v16, 16, v16
	s_waitcnt lgkmcnt(0)
	v_lshlrev_b32_e32 v17, 16, v17
	v_cmp_lt_f32_e64 s[0:1], v16, v17
	v_cndmask_b32_e64 v13, v13, v15, s[0:1]
	v_cndmask_b32_e64 v12, v18, v12, s[0:1]
	v_cmp_ge_i32_e64 s[0:1], v12, v13
	s_or_b64 s[4:5], s[0:1], s[4:5]
	s_andn2_b64 exec, exec, s[4:5]
	s_cbranch_execnz .LBB15_2
; %bb.3:
	s_or_b64 exec, exec, s[4:5]
.LBB15_4:
	s_or_b64 exec, exec, s[2:3]
	v_add_u32_e32 v10, v7, v10
	v_sub_u32_e32 v10, v10, v12
	v_lshl_add_u32 v17, v12, 1, v11
	v_lshlrev_b32_e32 v16, 1, v10
	ds_read_u16 v13, v17
	ds_read_u16 v14, v16
	v_add_u32_e32 v9, v12, v9
	v_cmp_le_i32_e64 s[2:3], v7, v9
	v_cmp_gt_i32_e64 s[0:1], v8, v10
	s_waitcnt lgkmcnt(1)
	v_lshlrev_b32_e32 v11, 16, v13
	s_waitcnt lgkmcnt(0)
	v_lshlrev_b32_e32 v12, 16, v14
	v_cmp_lt_f32_e64 s[4:5], v11, v12
	s_or_b64 s[2:3], s[2:3], s[4:5]
	s_and_b64 s[0:1], s[0:1], s[2:3]
	s_xor_b64 s[2:3], s[0:1], -1
                                        ; implicit-def: $vgpr15
	s_and_saveexec_b64 s[4:5], s[2:3]
	s_xor_b64 s[2:3], exec, s[4:5]
	s_cbranch_execz .LBB15_6
; %bb.5:
	ds_read_u16 v15, v17 offset:2
                                        ; implicit-def: $vgpr16
	s_waitcnt lgkmcnt(0)
	v_lshlrev_b32_e32 v11, 16, v15
.LBB15_6:
	s_or_saveexec_b64 s[2:3], s[2:3]
	v_mov_b32_e32 v17, v14
	s_xor_b64 exec, exec, s[2:3]
	s_cbranch_execz .LBB15_8
; %bb.7:
	ds_read_u16 v17, v16 offset:2
	v_mov_b32_e32 v15, v13
	s_waitcnt lgkmcnt(0)
	v_lshlrev_b32_e32 v12, 16, v17
.LBB15_8:
	s_or_b64 exec, exec, s[2:3]
	v_add_u32_e32 v16, 1, v9
	v_cndmask_b32_e64 v13, v13, v14, s[0:1]
	v_add_u32_e32 v14, 1, v10
	v_cndmask_b32_e64 v16, v16, v9, s[0:1]
	v_cndmask_b32_e64 v14, v10, v14, s[0:1]
	;; [unrolled: 1-line block ×3, first 2 shown]
	s_waitcnt vmcnt(0)
	v_alignbit_b32 v10, v6, v6, 16
	v_cmp_ge_i32_e64 s[0:1], v16, v7
	v_cmp_lt_f32_e64 s[2:3], v11, v12
	v_cndmask_b32_e32 v6, v6, v10, vcc
	v_cmp_lt_i32_e32 vcc, v14, v8
	s_or_b64 s[0:1], s[0:1], s[2:3]
	s_and_b64 vcc, vcc, s[0:1]
	v_cndmask_b32_e32 v7, v16, v14, vcc
	v_cndmask_b32_e32 v8, v15, v17, vcc
	; wave barrier
	ds_write_b32 v4, v6
	v_lshlrev_b32_e32 v6, 1, v9
	v_lshlrev_b32_e32 v7, 1, v7
	v_and_b32_e32 v10, 0x78, v5
	s_waitcnt lgkmcnt(0)
	; wave barrier
	ds_read_u16 v6, v6
	ds_read_u16 v7, v7
	s_waitcnt lgkmcnt(0)
	; wave barrier
	ds_write_b16 v4, v13
	ds_write_b16 v4, v8 offset:2
	v_or_b32_e32 v8, 4, v10
	v_add_u32_e32 v9, 8, v10
	v_and_b32_e32 v11, 6, v5
	v_sub_u32_e32 v12, v9, v8
	v_sub_u32_e32 v14, v8, v10
	;; [unrolled: 1-line block ×3, first 2 shown]
	v_cmp_ge_i32_e32 vcc, v11, v12
	v_cndmask_b32_e32 v12, 0, v15, vcc
	v_min_i32_e32 v14, v11, v14
	v_lshlrev_b32_e32 v13, 1, v10
	v_cmp_lt_i32_e32 vcc, v12, v14
	s_waitcnt lgkmcnt(0)
	; wave barrier
	s_and_saveexec_b64 s[0:1], vcc
	s_cbranch_execz .LBB15_12
; %bb.9:
	v_lshlrev_b32_e32 v15, 1, v11
	v_lshl_add_u32 v15, v8, 1, v15
	s_mov_b64 s[2:3], 0
.LBB15_10:                              ; =>This Inner Loop Header: Depth=1
	v_sub_u32_e32 v16, v14, v12
	v_lshrrev_b32_e32 v16, 1, v16
	v_add_u32_e32 v16, v16, v12
	v_not_b32_e32 v18, v16
	v_lshl_add_u32 v17, v16, 1, v13
	v_lshl_add_u32 v18, v18, 1, v15
	ds_read_u16 v17, v17
	ds_read_u16 v18, v18
	v_add_u32_e32 v19, 1, v16
	s_waitcnt lgkmcnt(1)
	v_lshlrev_b32_e32 v17, 16, v17
	s_waitcnt lgkmcnt(0)
	v_lshlrev_b32_e32 v18, 16, v18
	v_cmp_lt_f32_e32 vcc, v17, v18
	v_cndmask_b32_e32 v14, v14, v16, vcc
	v_cndmask_b32_e32 v12, v19, v12, vcc
	v_cmp_ge_i32_e32 vcc, v12, v14
	s_or_b64 s[2:3], vcc, s[2:3]
	s_andn2_b64 exec, exec, s[2:3]
	s_cbranch_execnz .LBB15_10
; %bb.11:
	s_or_b64 exec, exec, s[2:3]
.LBB15_12:
	s_or_b64 exec, exec, s[0:1]
	v_add_u32_e32 v11, v8, v11
	v_sub_u32_e32 v11, v11, v12
	v_lshl_add_u32 v18, v12, 1, v13
	v_lshlrev_b32_e32 v17, 1, v11
	ds_read_u16 v13, v18
	ds_read_u16 v14, v17
	v_add_u32_e32 v10, v12, v10
	v_cmp_le_i32_e64 s[0:1], v8, v10
	v_cmp_gt_i32_e32 vcc, v9, v11
	s_waitcnt lgkmcnt(1)
	v_lshlrev_b32_e32 v12, 16, v13
	s_waitcnt lgkmcnt(0)
	v_lshlrev_b32_e32 v15, 16, v14
	v_cmp_lt_f32_e64 s[2:3], v12, v15
	s_or_b64 s[0:1], s[0:1], s[2:3]
	s_and_b64 vcc, vcc, s[0:1]
	s_xor_b64 s[0:1], vcc, -1
                                        ; implicit-def: $vgpr16
	s_and_saveexec_b64 s[2:3], s[0:1]
	s_xor_b64 s[0:1], exec, s[2:3]
	s_cbranch_execz .LBB15_14
; %bb.13:
	ds_read_u16 v16, v18 offset:2
                                        ; implicit-def: $vgpr17
	s_waitcnt lgkmcnt(0)
	v_lshlrev_b32_e32 v12, 16, v16
.LBB15_14:
	s_or_saveexec_b64 s[0:1], s[0:1]
	v_mov_b32_e32 v18, v14
	s_xor_b64 exec, exec, s[0:1]
	s_cbranch_execz .LBB15_16
; %bb.15:
	ds_read_u16 v18, v17 offset:2
	v_mov_b32_e32 v16, v13
	s_waitcnt lgkmcnt(0)
	v_lshlrev_b32_e32 v15, 16, v18
.LBB15_16:
	s_or_b64 exec, exec, s[0:1]
	v_add_u32_e32 v17, 1, v10
	v_cndmask_b32_e32 v13, v13, v14, vcc
	v_add_u32_e32 v14, 1, v11
	v_cndmask_b32_e32 v17, v17, v10, vcc
	v_cndmask_b32_e32 v14, v11, v14, vcc
	v_cmp_ge_i32_e64 s[0:1], v17, v8
	v_cmp_lt_f32_e64 s[2:3], v12, v15
	v_cndmask_b32_e32 v10, v10, v11, vcc
	v_cmp_lt_i32_e32 vcc, v14, v9
	s_or_b64 s[0:1], s[0:1], s[2:3]
	s_and_b64 vcc, vcc, s[0:1]
	v_cndmask_b32_e32 v9, v17, v14, vcc
	v_cndmask_b32_e32 v8, v16, v18, vcc
	; wave barrier
	ds_write_b16 v4, v6
	ds_write_b16 v4, v7 offset:2
	v_lshlrev_b32_e32 v6, 1, v10
	v_lshlrev_b32_e32 v7, 1, v9
	v_and_b32_e32 v10, 0x70, v5
	s_waitcnt lgkmcnt(0)
	; wave barrier
	ds_read_u16 v6, v6
	ds_read_u16 v7, v7
	s_waitcnt lgkmcnt(0)
	; wave barrier
	ds_write_b16 v4, v13
	ds_write_b16 v4, v8 offset:2
	v_or_b32_e32 v8, 8, v10
	v_add_u32_e32 v9, 16, v10
	v_and_b32_e32 v11, 14, v5
	v_sub_u32_e32 v12, v9, v8
	v_sub_u32_e32 v14, v8, v10
	v_sub_u32_e32 v15, v11, v12
	v_cmp_ge_i32_e32 vcc, v11, v12
	v_cndmask_b32_e32 v12, 0, v15, vcc
	v_min_i32_e32 v14, v11, v14
	v_lshlrev_b32_e32 v13, 1, v10
	v_cmp_lt_i32_e32 vcc, v12, v14
	s_waitcnt lgkmcnt(0)
	; wave barrier
	s_and_saveexec_b64 s[0:1], vcc
	s_cbranch_execz .LBB15_20
; %bb.17:
	v_lshlrev_b32_e32 v15, 1, v11
	v_lshl_add_u32 v15, v8, 1, v15
	s_mov_b64 s[2:3], 0
.LBB15_18:                              ; =>This Inner Loop Header: Depth=1
	v_sub_u32_e32 v16, v14, v12
	v_lshrrev_b32_e32 v16, 1, v16
	v_add_u32_e32 v16, v16, v12
	v_not_b32_e32 v18, v16
	v_lshl_add_u32 v17, v16, 1, v13
	v_lshl_add_u32 v18, v18, 1, v15
	ds_read_u16 v17, v17
	ds_read_u16 v18, v18
	v_add_u32_e32 v19, 1, v16
	s_waitcnt lgkmcnt(1)
	v_lshlrev_b32_e32 v17, 16, v17
	s_waitcnt lgkmcnt(0)
	v_lshlrev_b32_e32 v18, 16, v18
	v_cmp_lt_f32_e32 vcc, v17, v18
	v_cndmask_b32_e32 v14, v14, v16, vcc
	v_cndmask_b32_e32 v12, v19, v12, vcc
	v_cmp_ge_i32_e32 vcc, v12, v14
	s_or_b64 s[2:3], vcc, s[2:3]
	s_andn2_b64 exec, exec, s[2:3]
	s_cbranch_execnz .LBB15_18
; %bb.19:
	s_or_b64 exec, exec, s[2:3]
.LBB15_20:
	s_or_b64 exec, exec, s[0:1]
	v_add_u32_e32 v11, v8, v11
	v_sub_u32_e32 v11, v11, v12
	v_lshl_add_u32 v18, v12, 1, v13
	v_lshlrev_b32_e32 v17, 1, v11
	ds_read_u16 v13, v18
	ds_read_u16 v14, v17
	v_add_u32_e32 v10, v12, v10
	v_cmp_le_i32_e64 s[0:1], v8, v10
	v_cmp_gt_i32_e32 vcc, v9, v11
	s_waitcnt lgkmcnt(1)
	v_lshlrev_b32_e32 v12, 16, v13
	s_waitcnt lgkmcnt(0)
	v_lshlrev_b32_e32 v15, 16, v14
	v_cmp_lt_f32_e64 s[2:3], v12, v15
	s_or_b64 s[0:1], s[0:1], s[2:3]
	s_and_b64 vcc, vcc, s[0:1]
	s_xor_b64 s[0:1], vcc, -1
                                        ; implicit-def: $vgpr16
	s_and_saveexec_b64 s[2:3], s[0:1]
	s_xor_b64 s[0:1], exec, s[2:3]
	s_cbranch_execz .LBB15_22
; %bb.21:
	ds_read_u16 v16, v18 offset:2
                                        ; implicit-def: $vgpr17
	s_waitcnt lgkmcnt(0)
	v_lshlrev_b32_e32 v12, 16, v16
.LBB15_22:
	s_or_saveexec_b64 s[0:1], s[0:1]
	v_mov_b32_e32 v18, v14
	s_xor_b64 exec, exec, s[0:1]
	s_cbranch_execz .LBB15_24
; %bb.23:
	ds_read_u16 v18, v17 offset:2
	v_mov_b32_e32 v16, v13
	s_waitcnt lgkmcnt(0)
	v_lshlrev_b32_e32 v15, 16, v18
.LBB15_24:
	s_or_b64 exec, exec, s[0:1]
	v_add_u32_e32 v17, 1, v10
	v_cndmask_b32_e32 v13, v13, v14, vcc
	v_add_u32_e32 v14, 1, v11
	v_cndmask_b32_e32 v17, v17, v10, vcc
	v_cndmask_b32_e32 v14, v11, v14, vcc
	v_cmp_ge_i32_e64 s[0:1], v17, v8
	v_cmp_lt_f32_e64 s[2:3], v12, v15
	v_cndmask_b32_e32 v10, v10, v11, vcc
	v_cmp_lt_i32_e32 vcc, v14, v9
	s_or_b64 s[0:1], s[0:1], s[2:3]
	s_and_b64 vcc, vcc, s[0:1]
	v_cndmask_b32_e32 v9, v17, v14, vcc
	v_cndmask_b32_e32 v8, v16, v18, vcc
	; wave barrier
	ds_write_b16 v4, v6
	ds_write_b16 v4, v7 offset:2
	v_lshlrev_b32_e32 v6, 1, v10
	v_lshlrev_b32_e32 v7, 1, v9
	v_and_b32_e32 v10, 0x60, v5
	s_waitcnt lgkmcnt(0)
	; wave barrier
	ds_read_u16 v6, v6
	ds_read_u16 v7, v7
	s_waitcnt lgkmcnt(0)
	; wave barrier
	ds_write_b16 v4, v13
	ds_write_b16 v4, v8 offset:2
	v_or_b32_e32 v8, 16, v10
	v_add_u32_e32 v9, 32, v10
	v_and_b32_e32 v11, 30, v5
	v_sub_u32_e32 v12, v9, v8
	v_sub_u32_e32 v14, v8, v10
	;; [unrolled: 1-line block ×3, first 2 shown]
	v_cmp_ge_i32_e32 vcc, v11, v12
	v_cndmask_b32_e32 v12, 0, v15, vcc
	v_min_i32_e32 v14, v11, v14
	v_lshlrev_b32_e32 v13, 1, v10
	v_cmp_lt_i32_e32 vcc, v12, v14
	s_waitcnt lgkmcnt(0)
	; wave barrier
	s_and_saveexec_b64 s[0:1], vcc
	s_cbranch_execz .LBB15_28
; %bb.25:
	v_lshlrev_b32_e32 v15, 1, v11
	v_lshl_add_u32 v15, v8, 1, v15
	s_mov_b64 s[2:3], 0
.LBB15_26:                              ; =>This Inner Loop Header: Depth=1
	v_sub_u32_e32 v16, v14, v12
	v_lshrrev_b32_e32 v16, 1, v16
	v_add_u32_e32 v16, v16, v12
	v_not_b32_e32 v18, v16
	v_lshl_add_u32 v17, v16, 1, v13
	v_lshl_add_u32 v18, v18, 1, v15
	ds_read_u16 v17, v17
	ds_read_u16 v18, v18
	v_add_u32_e32 v19, 1, v16
	s_waitcnt lgkmcnt(1)
	v_lshlrev_b32_e32 v17, 16, v17
	s_waitcnt lgkmcnt(0)
	v_lshlrev_b32_e32 v18, 16, v18
	v_cmp_lt_f32_e32 vcc, v17, v18
	v_cndmask_b32_e32 v14, v14, v16, vcc
	v_cndmask_b32_e32 v12, v19, v12, vcc
	v_cmp_ge_i32_e32 vcc, v12, v14
	s_or_b64 s[2:3], vcc, s[2:3]
	s_andn2_b64 exec, exec, s[2:3]
	s_cbranch_execnz .LBB15_26
; %bb.27:
	s_or_b64 exec, exec, s[2:3]
.LBB15_28:
	s_or_b64 exec, exec, s[0:1]
	v_add_u32_e32 v11, v8, v11
	v_sub_u32_e32 v11, v11, v12
	v_lshl_add_u32 v18, v12, 1, v13
	v_lshlrev_b32_e32 v17, 1, v11
	ds_read_u16 v13, v18
	ds_read_u16 v14, v17
	v_add_u32_e32 v10, v12, v10
	v_cmp_le_i32_e64 s[0:1], v8, v10
	v_cmp_gt_i32_e32 vcc, v9, v11
	s_waitcnt lgkmcnt(1)
	v_lshlrev_b32_e32 v12, 16, v13
	s_waitcnt lgkmcnt(0)
	v_lshlrev_b32_e32 v15, 16, v14
	v_cmp_lt_f32_e64 s[2:3], v12, v15
	s_or_b64 s[0:1], s[0:1], s[2:3]
	s_and_b64 vcc, vcc, s[0:1]
	s_xor_b64 s[0:1], vcc, -1
                                        ; implicit-def: $vgpr16
	s_and_saveexec_b64 s[2:3], s[0:1]
	s_xor_b64 s[0:1], exec, s[2:3]
	s_cbranch_execz .LBB15_30
; %bb.29:
	ds_read_u16 v16, v18 offset:2
                                        ; implicit-def: $vgpr17
	s_waitcnt lgkmcnt(0)
	v_lshlrev_b32_e32 v12, 16, v16
.LBB15_30:
	s_or_saveexec_b64 s[0:1], s[0:1]
	v_mov_b32_e32 v18, v14
	s_xor_b64 exec, exec, s[0:1]
	s_cbranch_execz .LBB15_32
; %bb.31:
	ds_read_u16 v18, v17 offset:2
	v_mov_b32_e32 v16, v13
	s_waitcnt lgkmcnt(0)
	v_lshlrev_b32_e32 v15, 16, v18
.LBB15_32:
	s_or_b64 exec, exec, s[0:1]
	v_add_u32_e32 v17, 1, v10
	v_cndmask_b32_e32 v13, v13, v14, vcc
	v_add_u32_e32 v14, 1, v11
	v_cndmask_b32_e32 v17, v17, v10, vcc
	v_cndmask_b32_e32 v14, v11, v14, vcc
	v_cmp_ge_i32_e64 s[0:1], v17, v8
	v_cmp_lt_f32_e64 s[2:3], v12, v15
	v_cndmask_b32_e32 v10, v10, v11, vcc
	v_cmp_lt_i32_e32 vcc, v14, v9
	s_or_b64 s[0:1], s[0:1], s[2:3]
	s_and_b64 vcc, vcc, s[0:1]
	v_cndmask_b32_e32 v9, v17, v14, vcc
	v_cndmask_b32_e32 v8, v16, v18, vcc
	; wave barrier
	ds_write_b16 v4, v6
	ds_write_b16 v4, v7 offset:2
	v_lshlrev_b32_e32 v6, 1, v10
	v_lshlrev_b32_e32 v7, 1, v9
	v_and_b32_e32 v10, 64, v5
	s_waitcnt lgkmcnt(0)
	; wave barrier
	ds_read_u16 v6, v6
	ds_read_u16 v7, v7
	s_waitcnt lgkmcnt(0)
	; wave barrier
	ds_write_b16 v4, v13
	ds_write_b16 v4, v8 offset:2
	v_or_b32_e32 v8, 32, v10
	v_add_u32_e32 v9, 64, v10
	v_and_b32_e32 v11, 62, v5
	v_sub_u32_e32 v12, v9, v8
	v_sub_u32_e32 v14, v8, v10
	;; [unrolled: 1-line block ×3, first 2 shown]
	v_cmp_ge_i32_e32 vcc, v11, v12
	v_cndmask_b32_e32 v12, 0, v15, vcc
	v_min_i32_e32 v14, v11, v14
	v_lshlrev_b32_e32 v13, 1, v10
	v_cmp_lt_i32_e32 vcc, v12, v14
	s_waitcnt lgkmcnt(0)
	; wave barrier
	s_and_saveexec_b64 s[0:1], vcc
	s_cbranch_execz .LBB15_36
; %bb.33:
	v_lshlrev_b32_e32 v15, 1, v11
	v_lshl_add_u32 v15, v8, 1, v15
	s_mov_b64 s[2:3], 0
.LBB15_34:                              ; =>This Inner Loop Header: Depth=1
	v_sub_u32_e32 v16, v14, v12
	v_lshrrev_b32_e32 v16, 1, v16
	v_add_u32_e32 v16, v16, v12
	v_not_b32_e32 v18, v16
	v_lshl_add_u32 v17, v16, 1, v13
	v_lshl_add_u32 v18, v18, 1, v15
	ds_read_u16 v17, v17
	ds_read_u16 v18, v18
	v_add_u32_e32 v19, 1, v16
	s_waitcnt lgkmcnt(1)
	v_lshlrev_b32_e32 v17, 16, v17
	s_waitcnt lgkmcnt(0)
	v_lshlrev_b32_e32 v18, 16, v18
	v_cmp_lt_f32_e32 vcc, v17, v18
	v_cndmask_b32_e32 v14, v14, v16, vcc
	v_cndmask_b32_e32 v12, v19, v12, vcc
	v_cmp_ge_i32_e32 vcc, v12, v14
	s_or_b64 s[2:3], vcc, s[2:3]
	s_andn2_b64 exec, exec, s[2:3]
	s_cbranch_execnz .LBB15_34
; %bb.35:
	s_or_b64 exec, exec, s[2:3]
.LBB15_36:
	s_or_b64 exec, exec, s[0:1]
	v_add_u32_e32 v11, v8, v11
	v_sub_u32_e32 v11, v11, v12
	v_lshl_add_u32 v18, v12, 1, v13
	v_lshlrev_b32_e32 v17, 1, v11
	ds_read_u16 v13, v18
	ds_read_u16 v14, v17
	v_add_u32_e32 v10, v12, v10
	v_cmp_le_i32_e64 s[0:1], v8, v10
	v_cmp_gt_i32_e32 vcc, v9, v11
	s_waitcnt lgkmcnt(1)
	v_lshlrev_b32_e32 v12, 16, v13
	s_waitcnt lgkmcnt(0)
	v_lshlrev_b32_e32 v15, 16, v14
	v_cmp_lt_f32_e64 s[2:3], v12, v15
	s_or_b64 s[0:1], s[0:1], s[2:3]
	s_and_b64 vcc, vcc, s[0:1]
	s_xor_b64 s[0:1], vcc, -1
                                        ; implicit-def: $vgpr16
	s_and_saveexec_b64 s[2:3], s[0:1]
	s_xor_b64 s[0:1], exec, s[2:3]
	s_cbranch_execz .LBB15_38
; %bb.37:
	ds_read_u16 v16, v18 offset:2
                                        ; implicit-def: $vgpr17
	s_waitcnt lgkmcnt(0)
	v_lshlrev_b32_e32 v12, 16, v16
.LBB15_38:
	s_or_saveexec_b64 s[0:1], s[0:1]
	v_mov_b32_e32 v18, v14
	s_xor_b64 exec, exec, s[0:1]
	s_cbranch_execz .LBB15_40
; %bb.39:
	ds_read_u16 v18, v17 offset:2
	v_mov_b32_e32 v16, v13
	s_waitcnt lgkmcnt(0)
	v_lshlrev_b32_e32 v15, 16, v18
.LBB15_40:
	s_or_b64 exec, exec, s[0:1]
	v_add_u32_e32 v17, 1, v10
	v_cndmask_b32_e32 v13, v13, v14, vcc
	v_add_u32_e32 v14, 1, v11
	v_cndmask_b32_e32 v17, v17, v10, vcc
	v_cndmask_b32_e32 v14, v11, v14, vcc
	v_cmp_ge_i32_e64 s[0:1], v17, v8
	v_cmp_lt_f32_e64 s[2:3], v12, v15
	v_cndmask_b32_e32 v10, v10, v11, vcc
	v_cmp_lt_i32_e32 vcc, v14, v9
	s_or_b64 s[0:1], s[0:1], s[2:3]
	s_and_b64 vcc, vcc, s[0:1]
	v_cndmask_b32_e32 v9, v17, v14, vcc
	; wave barrier
	ds_write_b16 v4, v6
	ds_write_b16 v4, v7 offset:2
	v_lshlrev_b32_e32 v6, 1, v10
	v_lshlrev_b32_e32 v7, 1, v9
	s_waitcnt lgkmcnt(0)
	; wave barrier
	ds_read_u16 v6, v6
	ds_read_u16 v7, v7
	v_cndmask_b32_e32 v8, v16, v18, vcc
	s_waitcnt lgkmcnt(0)
	; wave barrier
	ds_write_b16 v4, v13
	ds_write_b16 v4, v8 offset:2
	v_and_b32_e32 v8, 0x7e, v5
	v_sub_u32_e64 v5, v8, 64 clamp
	v_min_i32_e32 v9, 64, v8
	v_cmp_lt_i32_e32 vcc, v5, v9
	s_waitcnt lgkmcnt(0)
	; wave barrier
	s_and_saveexec_b64 s[0:1], vcc
	s_cbranch_execz .LBB15_44
; %bb.41:
	v_lshlrev_b32_e32 v10, 1, v8
	v_lshl_add_u32 v10, 64, 1, v10
	s_mov_b64 s[2:3], 0
.LBB15_42:                              ; =>This Inner Loop Header: Depth=1
	v_sub_u32_e32 v11, v9, v5
	v_lshrrev_b32_e32 v11, 1, v11
	v_add_u32_e32 v11, v11, v5
	v_not_b32_e32 v13, v11
	v_lshlrev_b32_e32 v12, 1, v11
	v_lshl_add_u32 v13, v13, 1, v10
	ds_read_u16 v12, v12
	ds_read_u16 v13, v13
	v_add_u32_e32 v14, 1, v11
	s_waitcnt lgkmcnt(1)
	v_lshlrev_b32_e32 v12, 16, v12
	s_waitcnt lgkmcnt(0)
	v_lshlrev_b32_e32 v13, 16, v13
	v_cmp_lt_f32_e32 vcc, v12, v13
	v_cndmask_b32_e32 v9, v9, v11, vcc
	v_cndmask_b32_e32 v5, v14, v5, vcc
	v_cmp_ge_i32_e32 vcc, v5, v9
	s_or_b64 s[2:3], vcc, s[2:3]
	s_andn2_b64 exec, exec, s[2:3]
	s_cbranch_execnz .LBB15_42
; %bb.43:
	s_or_b64 exec, exec, s[2:3]
.LBB15_44:
	s_or_b64 exec, exec, s[0:1]
	v_add_u32_e32 v8, 64, v8
	v_sub_u32_e32 v8, v8, v5
	v_lshlrev_b32_e32 v15, 1, v5
	v_lshlrev_b32_e32 v16, 1, v8
	ds_read_u16 v12, v15
	ds_read_u16 v9, v16
	s_movk_i32 s0, 0x7f
	v_cmp_lt_i32_e32 vcc, s0, v8
	v_cmp_gt_i32_e64 s[0:1], 64, v5
	s_waitcnt lgkmcnt(1)
	v_lshlrev_b32_e32 v10, 16, v12
	s_waitcnt lgkmcnt(0)
	v_lshlrev_b32_e32 v11, 16, v9
	v_cmp_nlt_f32_e64 s[2:3], v10, v11
	s_and_b64 s[0:1], s[0:1], s[2:3]
	s_or_b64 s[0:1], vcc, s[0:1]
                                        ; implicit-def: $vgpr14
                                        ; implicit-def: $vgpr13
	s_and_saveexec_b64 s[2:3], s[0:1]
	s_xor_b64 s[0:1], exec, s[2:3]
	s_cbranch_execz .LBB15_46
; %bb.45:
	ds_read_u16 v14, v15 offset:2
	v_add_u32_e32 v13, 1, v5
                                        ; implicit-def: $vgpr16
	s_waitcnt lgkmcnt(0)
	v_lshlrev_b32_e32 v10, 16, v14
.LBB15_46:
	s_or_saveexec_b64 s[0:1], s[0:1]
	v_mov_b32_e32 v15, v12
	v_mov_b32_e32 v17, v5
	s_xor_b64 exec, exec, s[0:1]
	s_cbranch_execz .LBB15_48
; %bb.47:
	ds_read_u16 v16, v16 offset:2
	v_add_u32_e32 v14, 1, v8
	v_mov_b32_e32 v15, v9
	v_mov_b32_e32 v17, v8
	;; [unrolled: 1-line block ×3, first 2 shown]
	s_waitcnt lgkmcnt(0)
	v_lshlrev_b32_e32 v11, 16, v16
	v_mov_b32_e32 v8, v14
	v_mov_b32_e32 v14, v12
	v_mov_b32_e32 v9, v16
.LBB15_48:
	s_or_b64 exec, exec, s[0:1]
	s_movk_i32 s0, 0x80
	v_cmp_gt_i32_e32 vcc, s0, v8
	v_cmp_le_i32_e64 s[0:1], 64, v13
	v_cmp_lt_f32_e64 s[2:3], v10, v11
	s_or_b64 s[0:1], s[0:1], s[2:3]
	s_and_b64 vcc, vcc, s[0:1]
	v_cndmask_b32_e32 v8, v13, v8, vcc
	; wave barrier
	ds_write_b16 v4, v6
	ds_write_b16 v4, v7 offset:2
	v_lshlrev_b32_e32 v4, 1, v17
	v_lshlrev_b32_e32 v6, 1, v8
	s_waitcnt lgkmcnt(0)
	; wave barrier
	ds_read_u16 v4, v4
	ds_read_u16 v6, v6
	v_cndmask_b32_e32 v5, v14, v9, vcc
	s_mov_b32 s0, 0x5040100
	v_perm_b32 v5, v5, v15, s0
	global_store_dword v[0:1], v5, off
	s_waitcnt lgkmcnt(0)
	v_perm_b32 v0, v6, v4, s0
	global_store_dword v[2:3], v0, off
	s_endpgm
	.section	.rodata,"a",@progbits
	.p2align	6, 0x0
	.amdhsa_kernel _Z21sort_key_value_kernelILj64ELj2E12hip_bfloat16S0_N10test_utils7greaterEEvPT1_PT2_T3_
		.amdhsa_group_segment_fixed_size 258
		.amdhsa_private_segment_fixed_size 0
		.amdhsa_kernarg_size 20
		.amdhsa_user_sgpr_count 6
		.amdhsa_user_sgpr_private_segment_buffer 1
		.amdhsa_user_sgpr_dispatch_ptr 0
		.amdhsa_user_sgpr_queue_ptr 0
		.amdhsa_user_sgpr_kernarg_segment_ptr 1
		.amdhsa_user_sgpr_dispatch_id 0
		.amdhsa_user_sgpr_flat_scratch_init 0
		.amdhsa_user_sgpr_private_segment_size 0
		.amdhsa_uses_dynamic_stack 0
		.amdhsa_system_sgpr_private_segment_wavefront_offset 0
		.amdhsa_system_sgpr_workgroup_id_x 1
		.amdhsa_system_sgpr_workgroup_id_y 0
		.amdhsa_system_sgpr_workgroup_id_z 0
		.amdhsa_system_sgpr_workgroup_info 0
		.amdhsa_system_vgpr_workitem_id 0
		.amdhsa_next_free_vgpr 20
		.amdhsa_next_free_sgpr 7
		.amdhsa_reserve_vcc 1
		.amdhsa_reserve_flat_scratch 0
		.amdhsa_float_round_mode_32 0
		.amdhsa_float_round_mode_16_64 0
		.amdhsa_float_denorm_mode_32 3
		.amdhsa_float_denorm_mode_16_64 3
		.amdhsa_dx10_clamp 1
		.amdhsa_ieee_mode 1
		.amdhsa_fp16_overflow 0
		.amdhsa_exception_fp_ieee_invalid_op 0
		.amdhsa_exception_fp_denorm_src 0
		.amdhsa_exception_fp_ieee_div_zero 0
		.amdhsa_exception_fp_ieee_overflow 0
		.amdhsa_exception_fp_ieee_underflow 0
		.amdhsa_exception_fp_ieee_inexact 0
		.amdhsa_exception_int_div_zero 0
	.end_amdhsa_kernel
	.section	.text._Z21sort_key_value_kernelILj64ELj2E12hip_bfloat16S0_N10test_utils7greaterEEvPT1_PT2_T3_,"axG",@progbits,_Z21sort_key_value_kernelILj64ELj2E12hip_bfloat16S0_N10test_utils7greaterEEvPT1_PT2_T3_,comdat
.Lfunc_end15:
	.size	_Z21sort_key_value_kernelILj64ELj2E12hip_bfloat16S0_N10test_utils7greaterEEvPT1_PT2_T3_, .Lfunc_end15-_Z21sort_key_value_kernelILj64ELj2E12hip_bfloat16S0_N10test_utils7greaterEEvPT1_PT2_T3_
                                        ; -- End function
	.set _Z21sort_key_value_kernelILj64ELj2E12hip_bfloat16S0_N10test_utils7greaterEEvPT1_PT2_T3_.num_vgpr, 20
	.set _Z21sort_key_value_kernelILj64ELj2E12hip_bfloat16S0_N10test_utils7greaterEEvPT1_PT2_T3_.num_agpr, 0
	.set _Z21sort_key_value_kernelILj64ELj2E12hip_bfloat16S0_N10test_utils7greaterEEvPT1_PT2_T3_.numbered_sgpr, 7
	.set _Z21sort_key_value_kernelILj64ELj2E12hip_bfloat16S0_N10test_utils7greaterEEvPT1_PT2_T3_.num_named_barrier, 0
	.set _Z21sort_key_value_kernelILj64ELj2E12hip_bfloat16S0_N10test_utils7greaterEEvPT1_PT2_T3_.private_seg_size, 0
	.set _Z21sort_key_value_kernelILj64ELj2E12hip_bfloat16S0_N10test_utils7greaterEEvPT1_PT2_T3_.uses_vcc, 1
	.set _Z21sort_key_value_kernelILj64ELj2E12hip_bfloat16S0_N10test_utils7greaterEEvPT1_PT2_T3_.uses_flat_scratch, 0
	.set _Z21sort_key_value_kernelILj64ELj2E12hip_bfloat16S0_N10test_utils7greaterEEvPT1_PT2_T3_.has_dyn_sized_stack, 0
	.set _Z21sort_key_value_kernelILj64ELj2E12hip_bfloat16S0_N10test_utils7greaterEEvPT1_PT2_T3_.has_recursion, 0
	.set _Z21sort_key_value_kernelILj64ELj2E12hip_bfloat16S0_N10test_utils7greaterEEvPT1_PT2_T3_.has_indirect_call, 0
	.section	.AMDGPU.csdata,"",@progbits
; Kernel info:
; codeLenInByte = 2956
; TotalNumSgprs: 11
; NumVgprs: 20
; ScratchSize: 0
; MemoryBound: 0
; FloatMode: 240
; IeeeMode: 1
; LDSByteSize: 258 bytes/workgroup (compile time only)
; SGPRBlocks: 1
; VGPRBlocks: 4
; NumSGPRsForWavesPerEU: 11
; NumVGPRsForWavesPerEU: 20
; Occupancy: 10
; WaveLimiterHint : 0
; COMPUTE_PGM_RSRC2:SCRATCH_EN: 0
; COMPUTE_PGM_RSRC2:USER_SGPR: 6
; COMPUTE_PGM_RSRC2:TRAP_HANDLER: 0
; COMPUTE_PGM_RSRC2:TGID_X_EN: 1
; COMPUTE_PGM_RSRC2:TGID_Y_EN: 0
; COMPUTE_PGM_RSRC2:TGID_Z_EN: 0
; COMPUTE_PGM_RSRC2:TIDIG_COMP_CNT: 0
	.section	.text._Z21sort_key_value_kernelILj64ELj2E6__halfS0_N10test_utils7greaterEEvPT1_PT2_T3_,"axG",@progbits,_Z21sort_key_value_kernelILj64ELj2E6__halfS0_N10test_utils7greaterEEvPT1_PT2_T3_,comdat
	.protected	_Z21sort_key_value_kernelILj64ELj2E6__halfS0_N10test_utils7greaterEEvPT1_PT2_T3_ ; -- Begin function _Z21sort_key_value_kernelILj64ELj2E6__halfS0_N10test_utils7greaterEEvPT1_PT2_T3_
	.globl	_Z21sort_key_value_kernelILj64ELj2E6__halfS0_N10test_utils7greaterEEvPT1_PT2_T3_
	.p2align	8
	.type	_Z21sort_key_value_kernelILj64ELj2E6__halfS0_N10test_utils7greaterEEvPT1_PT2_T3_,@function
_Z21sort_key_value_kernelILj64ELj2E6__halfS0_N10test_utils7greaterEEvPT1_PT2_T3_: ; @_Z21sort_key_value_kernelILj64ELj2E6__halfS0_N10test_utils7greaterEEvPT1_PT2_T3_
; %bb.0:
	s_load_dwordx4 s[0:3], s[4:5], 0x0
	s_lshl_b32 s4, s6, 7
	s_mov_b32 s5, 0
	s_lshl_b64 s[4:5], s[4:5], 1
	v_lshlrev_b32_e32 v4, 2, v0
	s_waitcnt lgkmcnt(0)
	s_add_u32 s0, s0, s4
	s_addc_u32 s1, s1, s5
	global_load_dword v14, v4, s[0:1]
	s_add_u32 s2, s2, s4
	s_addc_u32 s3, s3, s5
	global_load_dword v6, v4, s[2:3]
	v_lshlrev_b32_e32 v5, 1, v0
	v_and_b32_e32 v9, 0x7c, v5
	v_or_b32_e32 v7, 2, v9
	v_add_u32_e32 v8, 4, v9
	v_and_b32_e32 v11, 2, v5
	v_sub_u32_e32 v1, v8, v7
	v_sub_u32_e32 v0, v7, v9
	;; [unrolled: 1-line block ×3, first 2 shown]
	v_cmp_ge_i32_e32 vcc, v11, v1
	v_min_i32_e32 v13, v11, v0
	v_cndmask_b32_e32 v12, 0, v2, vcc
	v_mov_b32_e32 v1, s1
	v_add_co_u32_e32 v0, vcc, s0, v4
	v_addc_co_u32_e32 v1, vcc, 0, v1, vcc
	v_mov_b32_e32 v3, s3
	v_add_co_u32_e32 v2, vcc, s2, v4
	v_addc_co_u32_e32 v3, vcc, 0, v3, vcc
	v_lshlrev_b32_e32 v10, 1, v9
	v_cmp_lt_i32_e64 s[0:1], v12, v13
	s_waitcnt vmcnt(1)
	; wave barrier
	v_alignbit_b32 v15, v14, v14, 16
	v_cmp_lt_f16_sdwa vcc, v14, v14 src0_sel:DWORD src1_sel:WORD_1
	v_cndmask_b32_e32 v14, v14, v15, vcc
	ds_write_b32 v4, v14
	s_waitcnt lgkmcnt(0)
	; wave barrier
	s_and_saveexec_b64 s[2:3], s[0:1]
	s_cbranch_execz .LBB16_4
; %bb.1:
	v_lshlrev_b32_e32 v14, 1, v11
	v_lshl_add_u32 v14, v7, 1, v14
	s_mov_b64 s[4:5], 0
.LBB16_2:                               ; =>This Inner Loop Header: Depth=1
	v_sub_u32_e32 v15, v13, v12
	v_lshrrev_b32_e32 v15, 1, v15
	v_add_u32_e32 v15, v15, v12
	v_not_b32_e32 v17, v15
	v_lshl_add_u32 v16, v15, 1, v10
	v_lshl_add_u32 v17, v17, 1, v14
	ds_read_u16 v16, v16
	ds_read_u16 v17, v17
	v_add_u32_e32 v18, 1, v15
	s_waitcnt lgkmcnt(0)
	v_cmp_gt_f16_e64 s[0:1], v17, v16
	v_cndmask_b32_e64 v13, v13, v15, s[0:1]
	v_cndmask_b32_e64 v12, v18, v12, s[0:1]
	v_cmp_ge_i32_e64 s[0:1], v12, v13
	s_or_b64 s[4:5], s[0:1], s[4:5]
	s_andn2_b64 exec, exec, s[4:5]
	s_cbranch_execnz .LBB16_2
; %bb.3:
	s_or_b64 exec, exec, s[4:5]
.LBB16_4:
	s_or_b64 exec, exec, s[2:3]
	v_add_u32_e32 v11, v7, v11
	v_sub_u32_e32 v11, v11, v12
	v_lshlrev_b32_e32 v15, 1, v11
	v_lshl_add_u32 v16, v12, 1, v10
	ds_read_u16 v13, v15
	ds_read_u16 v14, v16
	v_add_u32_e32 v10, v12, v9
	v_cmp_le_i32_e64 s[2:3], v7, v10
	v_cmp_gt_i32_e64 s[0:1], v8, v11
	s_waitcnt lgkmcnt(1)
	v_mov_b32_e32 v9, v13
	s_waitcnt lgkmcnt(0)
	v_cmp_gt_f16_e64 s[4:5], v13, v14
	s_or_b64 s[2:3], s[2:3], s[4:5]
	s_and_b64 s[0:1], s[0:1], s[2:3]
	s_xor_b64 s[2:3], s[0:1], -1
                                        ; implicit-def: $vgpr12
	s_and_saveexec_b64 s[4:5], s[2:3]
	s_xor_b64 s[2:3], exec, s[4:5]
; %bb.5:
	ds_read_u16 v12, v16 offset:2
                                        ; implicit-def: $vgpr15
; %bb.6:
	s_andn2_saveexec_b64 s[2:3], s[2:3]
	s_cbranch_execz .LBB16_8
; %bb.7:
	ds_read_u16 v9, v15 offset:2
	s_waitcnt lgkmcnt(1)
	v_mov_b32_e32 v12, v14
.LBB16_8:
	s_or_b64 exec, exec, s[2:3]
	v_add_u32_e32 v15, 1, v10
	v_cndmask_b32_e64 v13, v14, v13, s[0:1]
	v_add_u32_e32 v14, 1, v11
	v_cndmask_b32_e64 v15, v15, v10, s[0:1]
	v_cndmask_b32_e64 v14, v11, v14, s[0:1]
	;; [unrolled: 1-line block ×3, first 2 shown]
	s_waitcnt vmcnt(0)
	v_alignbit_b32 v11, v6, v6, 16
	v_cmp_ge_i32_e64 s[0:1], v15, v7
	s_waitcnt lgkmcnt(0)
	v_cmp_gt_f16_e64 s[2:3], v9, v12
	v_cndmask_b32_e32 v6, v6, v11, vcc
	v_cmp_lt_i32_e32 vcc, v14, v8
	s_or_b64 s[0:1], s[0:1], s[2:3]
	s_and_b64 vcc, vcc, s[0:1]
	v_cndmask_b32_e32 v7, v15, v14, vcc
	v_cndmask_b32_e32 v8, v12, v9, vcc
	; wave barrier
	ds_write_b32 v4, v6
	v_lshlrev_b32_e32 v6, 1, v10
	v_lshlrev_b32_e32 v7, 1, v7
	v_and_b32_e32 v10, 0x78, v5
	s_waitcnt lgkmcnt(0)
	; wave barrier
	ds_read_u16 v6, v6
	ds_read_u16 v7, v7
	s_waitcnt lgkmcnt(0)
	; wave barrier
	ds_write_b16 v4, v13
	ds_write_b16 v4, v8 offset:2
	v_or_b32_e32 v8, 4, v10
	v_add_u32_e32 v9, 8, v10
	v_and_b32_e32 v11, 6, v5
	v_sub_u32_e32 v13, v9, v8
	v_sub_u32_e32 v14, v8, v10
	;; [unrolled: 1-line block ×3, first 2 shown]
	v_cmp_ge_i32_e32 vcc, v11, v13
	v_cndmask_b32_e32 v13, 0, v15, vcc
	v_min_i32_e32 v14, v11, v14
	v_lshlrev_b32_e32 v12, 1, v10
	v_cmp_lt_i32_e32 vcc, v13, v14
	s_waitcnt lgkmcnt(0)
	; wave barrier
	s_and_saveexec_b64 s[0:1], vcc
	s_cbranch_execz .LBB16_12
; %bb.9:
	v_lshlrev_b32_e32 v15, 1, v11
	v_lshl_add_u32 v15, v8, 1, v15
	s_mov_b64 s[2:3], 0
.LBB16_10:                              ; =>This Inner Loop Header: Depth=1
	v_sub_u32_e32 v16, v14, v13
	v_lshrrev_b32_e32 v16, 1, v16
	v_add_u32_e32 v16, v16, v13
	v_not_b32_e32 v18, v16
	v_lshl_add_u32 v17, v16, 1, v12
	v_lshl_add_u32 v18, v18, 1, v15
	ds_read_u16 v17, v17
	ds_read_u16 v18, v18
	v_add_u32_e32 v19, 1, v16
	s_waitcnt lgkmcnt(0)
	v_cmp_gt_f16_e32 vcc, v18, v17
	v_cndmask_b32_e32 v14, v14, v16, vcc
	v_cndmask_b32_e32 v13, v19, v13, vcc
	v_cmp_ge_i32_e32 vcc, v13, v14
	s_or_b64 s[2:3], vcc, s[2:3]
	s_andn2_b64 exec, exec, s[2:3]
	s_cbranch_execnz .LBB16_10
; %bb.11:
	s_or_b64 exec, exec, s[2:3]
.LBB16_12:
	s_or_b64 exec, exec, s[0:1]
	v_add_u32_e32 v11, v8, v11
	v_sub_u32_e32 v11, v11, v13
	v_lshlrev_b32_e32 v16, 1, v11
	v_lshl_add_u32 v17, v13, 1, v12
	ds_read_u16 v14, v16
	ds_read_u16 v15, v17
	v_add_u32_e32 v12, v13, v10
	v_cmp_le_i32_e64 s[0:1], v8, v12
	v_cmp_gt_i32_e32 vcc, v9, v11
	s_waitcnt lgkmcnt(1)
	v_mov_b32_e32 v10, v14
	s_waitcnt lgkmcnt(0)
	v_cmp_gt_f16_e64 s[2:3], v14, v15
	s_or_b64 s[0:1], s[0:1], s[2:3]
	s_and_b64 vcc, vcc, s[0:1]
	s_xor_b64 s[0:1], vcc, -1
                                        ; implicit-def: $vgpr13
	s_and_saveexec_b64 s[2:3], s[0:1]
	s_xor_b64 s[0:1], exec, s[2:3]
; %bb.13:
	ds_read_u16 v13, v17 offset:2
                                        ; implicit-def: $vgpr16
; %bb.14:
	s_andn2_saveexec_b64 s[0:1], s[0:1]
	s_cbranch_execz .LBB16_16
; %bb.15:
	ds_read_u16 v10, v16 offset:2
	s_waitcnt lgkmcnt(1)
	v_mov_b32_e32 v13, v15
.LBB16_16:
	s_or_b64 exec, exec, s[0:1]
	v_add_u32_e32 v16, 1, v12
	v_cndmask_b32_e32 v14, v15, v14, vcc
	v_add_u32_e32 v15, 1, v11
	v_cndmask_b32_e32 v16, v16, v12, vcc
	v_cndmask_b32_e32 v15, v11, v15, vcc
	v_cmp_ge_i32_e64 s[0:1], v16, v8
	s_waitcnt lgkmcnt(0)
	v_cmp_gt_f16_e64 s[2:3], v10, v13
	v_cndmask_b32_e32 v11, v12, v11, vcc
	v_cmp_lt_i32_e32 vcc, v15, v9
	s_or_b64 s[0:1], s[0:1], s[2:3]
	s_and_b64 vcc, vcc, s[0:1]
	v_cndmask_b32_e32 v9, v16, v15, vcc
	v_cndmask_b32_e32 v8, v13, v10, vcc
	; wave barrier
	ds_write_b16 v4, v6
	ds_write_b16 v4, v7 offset:2
	v_lshlrev_b32_e32 v6, 1, v11
	v_lshlrev_b32_e32 v7, 1, v9
	v_and_b32_e32 v10, 0x70, v5
	s_waitcnt lgkmcnt(0)
	; wave barrier
	ds_read_u16 v6, v6
	ds_read_u16 v7, v7
	s_waitcnt lgkmcnt(0)
	; wave barrier
	ds_write_b16 v4, v14
	ds_write_b16 v4, v8 offset:2
	v_or_b32_e32 v8, 8, v10
	v_add_u32_e32 v9, 16, v10
	v_and_b32_e32 v11, 14, v5
	v_sub_u32_e32 v13, v9, v8
	v_sub_u32_e32 v14, v8, v10
	;; [unrolled: 1-line block ×3, first 2 shown]
	v_cmp_ge_i32_e32 vcc, v11, v13
	v_cndmask_b32_e32 v13, 0, v15, vcc
	v_min_i32_e32 v14, v11, v14
	v_lshlrev_b32_e32 v12, 1, v10
	v_cmp_lt_i32_e32 vcc, v13, v14
	s_waitcnt lgkmcnt(0)
	; wave barrier
	s_and_saveexec_b64 s[0:1], vcc
	s_cbranch_execz .LBB16_20
; %bb.17:
	v_lshlrev_b32_e32 v15, 1, v11
	v_lshl_add_u32 v15, v8, 1, v15
	s_mov_b64 s[2:3], 0
.LBB16_18:                              ; =>This Inner Loop Header: Depth=1
	v_sub_u32_e32 v16, v14, v13
	v_lshrrev_b32_e32 v16, 1, v16
	v_add_u32_e32 v16, v16, v13
	v_not_b32_e32 v18, v16
	v_lshl_add_u32 v17, v16, 1, v12
	v_lshl_add_u32 v18, v18, 1, v15
	ds_read_u16 v17, v17
	ds_read_u16 v18, v18
	v_add_u32_e32 v19, 1, v16
	s_waitcnt lgkmcnt(0)
	v_cmp_gt_f16_e32 vcc, v18, v17
	v_cndmask_b32_e32 v14, v14, v16, vcc
	v_cndmask_b32_e32 v13, v19, v13, vcc
	v_cmp_ge_i32_e32 vcc, v13, v14
	s_or_b64 s[2:3], vcc, s[2:3]
	s_andn2_b64 exec, exec, s[2:3]
	s_cbranch_execnz .LBB16_18
; %bb.19:
	s_or_b64 exec, exec, s[2:3]
.LBB16_20:
	s_or_b64 exec, exec, s[0:1]
	v_add_u32_e32 v11, v8, v11
	v_sub_u32_e32 v11, v11, v13
	v_lshlrev_b32_e32 v16, 1, v11
	v_lshl_add_u32 v17, v13, 1, v12
	ds_read_u16 v14, v16
	ds_read_u16 v15, v17
	v_add_u32_e32 v12, v13, v10
	v_cmp_le_i32_e64 s[0:1], v8, v12
	v_cmp_gt_i32_e32 vcc, v9, v11
	s_waitcnt lgkmcnt(1)
	v_mov_b32_e32 v10, v14
	s_waitcnt lgkmcnt(0)
	v_cmp_gt_f16_e64 s[2:3], v14, v15
	s_or_b64 s[0:1], s[0:1], s[2:3]
	s_and_b64 vcc, vcc, s[0:1]
	s_xor_b64 s[0:1], vcc, -1
                                        ; implicit-def: $vgpr13
	s_and_saveexec_b64 s[2:3], s[0:1]
	s_xor_b64 s[0:1], exec, s[2:3]
; %bb.21:
	ds_read_u16 v13, v17 offset:2
                                        ; implicit-def: $vgpr16
; %bb.22:
	s_andn2_saveexec_b64 s[0:1], s[0:1]
	s_cbranch_execz .LBB16_24
; %bb.23:
	ds_read_u16 v10, v16 offset:2
	s_waitcnt lgkmcnt(1)
	v_mov_b32_e32 v13, v15
.LBB16_24:
	s_or_b64 exec, exec, s[0:1]
	v_add_u32_e32 v16, 1, v12
	v_cndmask_b32_e32 v14, v15, v14, vcc
	v_add_u32_e32 v15, 1, v11
	v_cndmask_b32_e32 v16, v16, v12, vcc
	v_cndmask_b32_e32 v15, v11, v15, vcc
	v_cmp_ge_i32_e64 s[0:1], v16, v8
	s_waitcnt lgkmcnt(0)
	v_cmp_gt_f16_e64 s[2:3], v10, v13
	v_cndmask_b32_e32 v11, v12, v11, vcc
	v_cmp_lt_i32_e32 vcc, v15, v9
	s_or_b64 s[0:1], s[0:1], s[2:3]
	s_and_b64 vcc, vcc, s[0:1]
	v_cndmask_b32_e32 v9, v16, v15, vcc
	v_cndmask_b32_e32 v8, v13, v10, vcc
	; wave barrier
	ds_write_b16 v4, v6
	ds_write_b16 v4, v7 offset:2
	v_lshlrev_b32_e32 v6, 1, v11
	v_lshlrev_b32_e32 v7, 1, v9
	v_and_b32_e32 v10, 0x60, v5
	s_waitcnt lgkmcnt(0)
	; wave barrier
	ds_read_u16 v6, v6
	ds_read_u16 v7, v7
	s_waitcnt lgkmcnt(0)
	; wave barrier
	ds_write_b16 v4, v14
	ds_write_b16 v4, v8 offset:2
	v_or_b32_e32 v8, 16, v10
	v_add_u32_e32 v9, 32, v10
	v_and_b32_e32 v11, 30, v5
	v_sub_u32_e32 v13, v9, v8
	v_sub_u32_e32 v14, v8, v10
	;; [unrolled: 1-line block ×3, first 2 shown]
	v_cmp_ge_i32_e32 vcc, v11, v13
	v_cndmask_b32_e32 v13, 0, v15, vcc
	v_min_i32_e32 v14, v11, v14
	v_lshlrev_b32_e32 v12, 1, v10
	v_cmp_lt_i32_e32 vcc, v13, v14
	s_waitcnt lgkmcnt(0)
	; wave barrier
	s_and_saveexec_b64 s[0:1], vcc
	s_cbranch_execz .LBB16_28
; %bb.25:
	v_lshlrev_b32_e32 v15, 1, v11
	v_lshl_add_u32 v15, v8, 1, v15
	s_mov_b64 s[2:3], 0
.LBB16_26:                              ; =>This Inner Loop Header: Depth=1
	v_sub_u32_e32 v16, v14, v13
	v_lshrrev_b32_e32 v16, 1, v16
	v_add_u32_e32 v16, v16, v13
	v_not_b32_e32 v18, v16
	v_lshl_add_u32 v17, v16, 1, v12
	v_lshl_add_u32 v18, v18, 1, v15
	ds_read_u16 v17, v17
	ds_read_u16 v18, v18
	v_add_u32_e32 v19, 1, v16
	s_waitcnt lgkmcnt(0)
	v_cmp_gt_f16_e32 vcc, v18, v17
	v_cndmask_b32_e32 v14, v14, v16, vcc
	v_cndmask_b32_e32 v13, v19, v13, vcc
	v_cmp_ge_i32_e32 vcc, v13, v14
	s_or_b64 s[2:3], vcc, s[2:3]
	s_andn2_b64 exec, exec, s[2:3]
	s_cbranch_execnz .LBB16_26
; %bb.27:
	s_or_b64 exec, exec, s[2:3]
.LBB16_28:
	s_or_b64 exec, exec, s[0:1]
	v_add_u32_e32 v11, v8, v11
	v_sub_u32_e32 v11, v11, v13
	v_lshlrev_b32_e32 v16, 1, v11
	v_lshl_add_u32 v17, v13, 1, v12
	ds_read_u16 v14, v16
	ds_read_u16 v15, v17
	v_add_u32_e32 v12, v13, v10
	v_cmp_le_i32_e64 s[0:1], v8, v12
	v_cmp_gt_i32_e32 vcc, v9, v11
	s_waitcnt lgkmcnt(1)
	v_mov_b32_e32 v10, v14
	s_waitcnt lgkmcnt(0)
	v_cmp_gt_f16_e64 s[2:3], v14, v15
	s_or_b64 s[0:1], s[0:1], s[2:3]
	s_and_b64 vcc, vcc, s[0:1]
	s_xor_b64 s[0:1], vcc, -1
                                        ; implicit-def: $vgpr13
	s_and_saveexec_b64 s[2:3], s[0:1]
	s_xor_b64 s[0:1], exec, s[2:3]
; %bb.29:
	ds_read_u16 v13, v17 offset:2
                                        ; implicit-def: $vgpr16
; %bb.30:
	s_andn2_saveexec_b64 s[0:1], s[0:1]
	s_cbranch_execz .LBB16_32
; %bb.31:
	ds_read_u16 v10, v16 offset:2
	s_waitcnt lgkmcnt(1)
	v_mov_b32_e32 v13, v15
.LBB16_32:
	s_or_b64 exec, exec, s[0:1]
	v_add_u32_e32 v16, 1, v12
	v_cndmask_b32_e32 v14, v15, v14, vcc
	v_add_u32_e32 v15, 1, v11
	v_cndmask_b32_e32 v16, v16, v12, vcc
	v_cndmask_b32_e32 v15, v11, v15, vcc
	v_cmp_ge_i32_e64 s[0:1], v16, v8
	s_waitcnt lgkmcnt(0)
	v_cmp_gt_f16_e64 s[2:3], v10, v13
	v_cndmask_b32_e32 v11, v12, v11, vcc
	v_cmp_lt_i32_e32 vcc, v15, v9
	s_or_b64 s[0:1], s[0:1], s[2:3]
	s_and_b64 vcc, vcc, s[0:1]
	v_cndmask_b32_e32 v9, v16, v15, vcc
	v_cndmask_b32_e32 v8, v13, v10, vcc
	; wave barrier
	ds_write_b16 v4, v6
	ds_write_b16 v4, v7 offset:2
	v_lshlrev_b32_e32 v6, 1, v11
	v_lshlrev_b32_e32 v7, 1, v9
	v_and_b32_e32 v10, 64, v5
	s_waitcnt lgkmcnt(0)
	; wave barrier
	ds_read_u16 v6, v6
	ds_read_u16 v7, v7
	s_waitcnt lgkmcnt(0)
	; wave barrier
	ds_write_b16 v4, v14
	ds_write_b16 v4, v8 offset:2
	v_or_b32_e32 v8, 32, v10
	v_add_u32_e32 v9, 64, v10
	v_and_b32_e32 v11, 62, v5
	v_sub_u32_e32 v13, v9, v8
	v_sub_u32_e32 v14, v8, v10
	;; [unrolled: 1-line block ×3, first 2 shown]
	v_cmp_ge_i32_e32 vcc, v11, v13
	v_cndmask_b32_e32 v13, 0, v15, vcc
	v_min_i32_e32 v14, v11, v14
	v_lshlrev_b32_e32 v12, 1, v10
	v_cmp_lt_i32_e32 vcc, v13, v14
	s_waitcnt lgkmcnt(0)
	; wave barrier
	s_and_saveexec_b64 s[0:1], vcc
	s_cbranch_execz .LBB16_36
; %bb.33:
	v_lshlrev_b32_e32 v15, 1, v11
	v_lshl_add_u32 v15, v8, 1, v15
	s_mov_b64 s[2:3], 0
.LBB16_34:                              ; =>This Inner Loop Header: Depth=1
	v_sub_u32_e32 v16, v14, v13
	v_lshrrev_b32_e32 v16, 1, v16
	v_add_u32_e32 v16, v16, v13
	v_not_b32_e32 v18, v16
	v_lshl_add_u32 v17, v16, 1, v12
	v_lshl_add_u32 v18, v18, 1, v15
	ds_read_u16 v17, v17
	ds_read_u16 v18, v18
	v_add_u32_e32 v19, 1, v16
	s_waitcnt lgkmcnt(0)
	v_cmp_gt_f16_e32 vcc, v18, v17
	v_cndmask_b32_e32 v14, v14, v16, vcc
	v_cndmask_b32_e32 v13, v19, v13, vcc
	v_cmp_ge_i32_e32 vcc, v13, v14
	s_or_b64 s[2:3], vcc, s[2:3]
	s_andn2_b64 exec, exec, s[2:3]
	s_cbranch_execnz .LBB16_34
; %bb.35:
	s_or_b64 exec, exec, s[2:3]
.LBB16_36:
	s_or_b64 exec, exec, s[0:1]
	v_add_u32_e32 v11, v8, v11
	v_sub_u32_e32 v11, v11, v13
	v_lshlrev_b32_e32 v16, 1, v11
	v_lshl_add_u32 v17, v13, 1, v12
	ds_read_u16 v14, v16
	ds_read_u16 v15, v17
	v_add_u32_e32 v12, v13, v10
	v_cmp_le_i32_e64 s[0:1], v8, v12
	v_cmp_gt_i32_e32 vcc, v9, v11
	s_waitcnt lgkmcnt(1)
	v_mov_b32_e32 v10, v14
	s_waitcnt lgkmcnt(0)
	v_cmp_gt_f16_e64 s[2:3], v14, v15
	s_or_b64 s[0:1], s[0:1], s[2:3]
	s_and_b64 vcc, vcc, s[0:1]
	s_xor_b64 s[0:1], vcc, -1
                                        ; implicit-def: $vgpr13
	s_and_saveexec_b64 s[2:3], s[0:1]
	s_xor_b64 s[0:1], exec, s[2:3]
; %bb.37:
	ds_read_u16 v13, v17 offset:2
                                        ; implicit-def: $vgpr16
; %bb.38:
	s_andn2_saveexec_b64 s[0:1], s[0:1]
	s_cbranch_execz .LBB16_40
; %bb.39:
	ds_read_u16 v10, v16 offset:2
	s_waitcnt lgkmcnt(1)
	v_mov_b32_e32 v13, v15
.LBB16_40:
	s_or_b64 exec, exec, s[0:1]
	v_add_u32_e32 v16, 1, v12
	v_cndmask_b32_e32 v14, v15, v14, vcc
	v_add_u32_e32 v15, 1, v11
	v_cndmask_b32_e32 v16, v16, v12, vcc
	v_cndmask_b32_e32 v15, v11, v15, vcc
	v_cmp_ge_i32_e64 s[0:1], v16, v8
	s_waitcnt lgkmcnt(0)
	v_cmp_gt_f16_e64 s[2:3], v10, v13
	v_cndmask_b32_e32 v11, v12, v11, vcc
	v_cmp_lt_i32_e32 vcc, v15, v9
	s_or_b64 s[0:1], s[0:1], s[2:3]
	s_and_b64 vcc, vcc, s[0:1]
	v_cndmask_b32_e32 v9, v16, v15, vcc
	; wave barrier
	ds_write_b16 v4, v6
	ds_write_b16 v4, v7 offset:2
	v_lshlrev_b32_e32 v6, 1, v11
	v_lshlrev_b32_e32 v7, 1, v9
	s_waitcnt lgkmcnt(0)
	; wave barrier
	ds_read_u16 v6, v6
	ds_read_u16 v7, v7
	v_cndmask_b32_e32 v8, v13, v10, vcc
	s_waitcnt lgkmcnt(0)
	; wave barrier
	ds_write_b16 v4, v14
	ds_write_b16 v4, v8 offset:2
	v_and_b32_e32 v8, 0x7e, v5
	v_sub_u32_e64 v5, v8, 64 clamp
	v_min_i32_e32 v9, 64, v8
	v_cmp_lt_i32_e32 vcc, v5, v9
	s_waitcnt lgkmcnt(0)
	; wave barrier
	s_and_saveexec_b64 s[0:1], vcc
	s_cbranch_execz .LBB16_44
; %bb.41:
	v_lshlrev_b32_e32 v10, 1, v8
	v_lshl_add_u32 v10, 64, 1, v10
	s_mov_b64 s[2:3], 0
.LBB16_42:                              ; =>This Inner Loop Header: Depth=1
	v_sub_u32_e32 v11, v9, v5
	v_lshrrev_b32_e32 v11, 1, v11
	v_add_u32_e32 v11, v11, v5
	v_not_b32_e32 v13, v11
	v_lshlrev_b32_e32 v12, 1, v11
	v_lshl_add_u32 v13, v13, 1, v10
	ds_read_u16 v12, v12
	ds_read_u16 v13, v13
	v_add_u32_e32 v14, 1, v11
	s_waitcnt lgkmcnt(0)
	v_cmp_gt_f16_e32 vcc, v13, v12
	v_cndmask_b32_e32 v9, v9, v11, vcc
	v_cndmask_b32_e32 v5, v14, v5, vcc
	v_cmp_ge_i32_e32 vcc, v5, v9
	s_or_b64 s[2:3], vcc, s[2:3]
	s_andn2_b64 exec, exec, s[2:3]
	s_cbranch_execnz .LBB16_42
; %bb.43:
	s_or_b64 exec, exec, s[2:3]
.LBB16_44:
	s_or_b64 exec, exec, s[0:1]
	v_add_u32_e32 v8, 64, v8
	v_sub_u32_e32 v8, v8, v5
	v_lshlrev_b32_e32 v13, 1, v5
	v_lshlrev_b32_e32 v14, 1, v8
	ds_read_u16 v12, v13
	ds_read_u16 v9, v14
	s_movk_i32 s0, 0x7f
	v_cmp_lt_i32_e32 vcc, s0, v8
	v_cmp_gt_i32_e64 s[0:1], 64, v5
                                        ; implicit-def: $vgpr11
                                        ; implicit-def: $vgpr10
	s_waitcnt lgkmcnt(0)
	v_cmp_ngt_f16_e64 s[2:3], v9, v12
	s_and_b64 s[0:1], s[0:1], s[2:3]
	s_or_b64 s[0:1], vcc, s[0:1]
	s_and_saveexec_b64 s[2:3], s[0:1]
	s_xor_b64 s[0:1], exec, s[2:3]
; %bb.45:
	ds_read_u16 v11, v13 offset:2
	v_add_u32_e32 v10, 1, v5
                                        ; implicit-def: $vgpr14
; %bb.46:
	s_or_saveexec_b64 s[0:1], s[0:1]
	v_mov_b32_e32 v13, v12
	v_mov_b32_e32 v15, v5
	s_xor_b64 exec, exec, s[0:1]
	s_cbranch_execz .LBB16_48
; %bb.47:
	ds_read_u16 v14, v14 offset:2
	s_waitcnt lgkmcnt(1)
	v_add_u32_e32 v11, 1, v8
	v_mov_b32_e32 v13, v9
	v_mov_b32_e32 v15, v8
	;; [unrolled: 1-line block ×5, first 2 shown]
	s_waitcnt lgkmcnt(0)
	v_mov_b32_e32 v9, v14
.LBB16_48:
	s_or_b64 exec, exec, s[0:1]
	s_movk_i32 s0, 0x80
	v_cmp_gt_i32_e32 vcc, s0, v8
	v_cmp_le_i32_e64 s[0:1], 64, v10
	s_waitcnt lgkmcnt(0)
	v_cmp_gt_f16_e64 s[2:3], v9, v11
	s_or_b64 s[0:1], s[0:1], s[2:3]
	s_and_b64 vcc, vcc, s[0:1]
	v_cndmask_b32_e32 v8, v10, v8, vcc
	; wave barrier
	ds_write_b16 v4, v6
	ds_write_b16 v4, v7 offset:2
	v_lshlrev_b32_e32 v4, 1, v15
	v_lshlrev_b32_e32 v6, 1, v8
	s_waitcnt lgkmcnt(0)
	; wave barrier
	ds_read_u16 v4, v4
	ds_read_u16 v6, v6
	v_cndmask_b32_e32 v5, v11, v9, vcc
	s_mov_b32 s0, 0x5040100
	v_perm_b32 v5, v5, v13, s0
	global_store_dword v[0:1], v5, off
	s_waitcnt lgkmcnt(0)
	v_perm_b32 v0, v6, v4, s0
	global_store_dword v[2:3], v0, off
	s_endpgm
	.section	.rodata,"a",@progbits
	.p2align	6, 0x0
	.amdhsa_kernel _Z21sort_key_value_kernelILj64ELj2E6__halfS0_N10test_utils7greaterEEvPT1_PT2_T3_
		.amdhsa_group_segment_fixed_size 258
		.amdhsa_private_segment_fixed_size 0
		.amdhsa_kernarg_size 20
		.amdhsa_user_sgpr_count 6
		.amdhsa_user_sgpr_private_segment_buffer 1
		.amdhsa_user_sgpr_dispatch_ptr 0
		.amdhsa_user_sgpr_queue_ptr 0
		.amdhsa_user_sgpr_kernarg_segment_ptr 1
		.amdhsa_user_sgpr_dispatch_id 0
		.amdhsa_user_sgpr_flat_scratch_init 0
		.amdhsa_user_sgpr_private_segment_size 0
		.amdhsa_uses_dynamic_stack 0
		.amdhsa_system_sgpr_private_segment_wavefront_offset 0
		.amdhsa_system_sgpr_workgroup_id_x 1
		.amdhsa_system_sgpr_workgroup_id_y 0
		.amdhsa_system_sgpr_workgroup_id_z 0
		.amdhsa_system_sgpr_workgroup_info 0
		.amdhsa_system_vgpr_workitem_id 0
		.amdhsa_next_free_vgpr 20
		.amdhsa_next_free_sgpr 7
		.amdhsa_reserve_vcc 1
		.amdhsa_reserve_flat_scratch 0
		.amdhsa_float_round_mode_32 0
		.amdhsa_float_round_mode_16_64 0
		.amdhsa_float_denorm_mode_32 3
		.amdhsa_float_denorm_mode_16_64 3
		.amdhsa_dx10_clamp 1
		.amdhsa_ieee_mode 1
		.amdhsa_fp16_overflow 0
		.amdhsa_exception_fp_ieee_invalid_op 0
		.amdhsa_exception_fp_denorm_src 0
		.amdhsa_exception_fp_ieee_div_zero 0
		.amdhsa_exception_fp_ieee_overflow 0
		.amdhsa_exception_fp_ieee_underflow 0
		.amdhsa_exception_fp_ieee_inexact 0
		.amdhsa_exception_int_div_zero 0
	.end_amdhsa_kernel
	.section	.text._Z21sort_key_value_kernelILj64ELj2E6__halfS0_N10test_utils7greaterEEvPT1_PT2_T3_,"axG",@progbits,_Z21sort_key_value_kernelILj64ELj2E6__halfS0_N10test_utils7greaterEEvPT1_PT2_T3_,comdat
.Lfunc_end16:
	.size	_Z21sort_key_value_kernelILj64ELj2E6__halfS0_N10test_utils7greaterEEvPT1_PT2_T3_, .Lfunc_end16-_Z21sort_key_value_kernelILj64ELj2E6__halfS0_N10test_utils7greaterEEvPT1_PT2_T3_
                                        ; -- End function
	.set _Z21sort_key_value_kernelILj64ELj2E6__halfS0_N10test_utils7greaterEEvPT1_PT2_T3_.num_vgpr, 20
	.set _Z21sort_key_value_kernelILj64ELj2E6__halfS0_N10test_utils7greaterEEvPT1_PT2_T3_.num_agpr, 0
	.set _Z21sort_key_value_kernelILj64ELj2E6__halfS0_N10test_utils7greaterEEvPT1_PT2_T3_.numbered_sgpr, 7
	.set _Z21sort_key_value_kernelILj64ELj2E6__halfS0_N10test_utils7greaterEEvPT1_PT2_T3_.num_named_barrier, 0
	.set _Z21sort_key_value_kernelILj64ELj2E6__halfS0_N10test_utils7greaterEEvPT1_PT2_T3_.private_seg_size, 0
	.set _Z21sort_key_value_kernelILj64ELj2E6__halfS0_N10test_utils7greaterEEvPT1_PT2_T3_.uses_vcc, 1
	.set _Z21sort_key_value_kernelILj64ELj2E6__halfS0_N10test_utils7greaterEEvPT1_PT2_T3_.uses_flat_scratch, 0
	.set _Z21sort_key_value_kernelILj64ELj2E6__halfS0_N10test_utils7greaterEEvPT1_PT2_T3_.has_dyn_sized_stack, 0
	.set _Z21sort_key_value_kernelILj64ELj2E6__halfS0_N10test_utils7greaterEEvPT1_PT2_T3_.has_recursion, 0
	.set _Z21sort_key_value_kernelILj64ELj2E6__halfS0_N10test_utils7greaterEEvPT1_PT2_T3_.has_indirect_call, 0
	.section	.AMDGPU.csdata,"",@progbits
; Kernel info:
; codeLenInByte = 2736
; TotalNumSgprs: 11
; NumVgprs: 20
; ScratchSize: 0
; MemoryBound: 0
; FloatMode: 240
; IeeeMode: 1
; LDSByteSize: 258 bytes/workgroup (compile time only)
; SGPRBlocks: 1
; VGPRBlocks: 4
; NumSGPRsForWavesPerEU: 11
; NumVGPRsForWavesPerEU: 20
; Occupancy: 10
; WaveLimiterHint : 0
; COMPUTE_PGM_RSRC2:SCRATCH_EN: 0
; COMPUTE_PGM_RSRC2:USER_SGPR: 6
; COMPUTE_PGM_RSRC2:TRAP_HANDLER: 0
; COMPUTE_PGM_RSRC2:TGID_X_EN: 1
; COMPUTE_PGM_RSRC2:TGID_Y_EN: 0
; COMPUTE_PGM_RSRC2:TGID_Z_EN: 0
; COMPUTE_PGM_RSRC2:TIDIG_COMP_CNT: 0
	.section	.text._Z21sort_key_value_kernelILj64ELj2EfcN10test_utils7greaterEEvPT1_PT2_T3_,"axG",@progbits,_Z21sort_key_value_kernelILj64ELj2EfcN10test_utils7greaterEEvPT1_PT2_T3_,comdat
	.protected	_Z21sort_key_value_kernelILj64ELj2EfcN10test_utils7greaterEEvPT1_PT2_T3_ ; -- Begin function _Z21sort_key_value_kernelILj64ELj2EfcN10test_utils7greaterEEvPT1_PT2_T3_
	.globl	_Z21sort_key_value_kernelILj64ELj2EfcN10test_utils7greaterEEvPT1_PT2_T3_
	.p2align	8
	.type	_Z21sort_key_value_kernelILj64ELj2EfcN10test_utils7greaterEEvPT1_PT2_T3_,@function
_Z21sort_key_value_kernelILj64ELj2EfcN10test_utils7greaterEEvPT1_PT2_T3_: ; @_Z21sort_key_value_kernelILj64ELj2EfcN10test_utils7greaterEEvPT1_PT2_T3_
; %bb.0:
	s_load_dwordx4 s[0:3], s[4:5], 0x0
	s_lshl_b32 s4, s6, 7
	s_mov_b32 s5, 0
	s_lshl_b64 s[6:7], s[4:5], 2
	v_lshlrev_b32_e32 v5, 3, v0
	s_waitcnt lgkmcnt(0)
	s_add_u32 s0, s0, s6
	s_addc_u32 s1, s1, s7
	global_load_dwordx2 v[15:16], v5, s[0:1]
	s_add_u32 s2, s2, s4
	v_lshlrev_b32_e32 v6, 1, v0
	s_addc_u32 s3, s3, 0
	global_load_ushort v7, v6, s[2:3]
	v_and_b32_e32 v10, 0x7c, v6
	v_or_b32_e32 v8, 2, v10
	v_add_u32_e32 v9, 4, v10
	v_and_b32_e32 v11, 2, v6
	v_sub_u32_e32 v2, v9, v8
	v_sub_u32_e32 v1, v8, v10
	;; [unrolled: 1-line block ×3, first 2 shown]
	v_cmp_ge_i32_e32 vcc, v11, v2
	v_min_i32_e32 v14, v11, v1
	v_cndmask_b32_e32 v13, 0, v3, vcc
	v_mov_b32_e32 v2, s1
	v_add_co_u32_e32 v1, vcc, s0, v5
	v_addc_co_u32_e32 v2, vcc, 0, v2, vcc
	v_mov_b32_e32 v4, s3
	v_add_co_u32_e32 v3, vcc, s2, v6
	v_addc_co_u32_e32 v4, vcc, 0, v4, vcc
	v_lshlrev_b32_e32 v12, 2, v10
	v_cmp_lt_i32_e64 s[0:1], v13, v14
	s_waitcnt vmcnt(1)
	; wave barrier
	v_cmp_gt_f32_e32 vcc, v16, v15
	v_cndmask_b32_e32 v17, v16, v15, vcc
	v_cndmask_b32_e32 v15, v15, v16, vcc
	ds_write2_b32 v5, v15, v17 offset1:1
	s_waitcnt lgkmcnt(0)
	; wave barrier
	s_and_saveexec_b64 s[2:3], s[0:1]
	s_cbranch_execz .LBB17_4
; %bb.1:
	v_lshlrev_b32_e32 v15, 2, v11
	v_lshl_add_u32 v15, v8, 2, v15
	s_mov_b64 s[4:5], 0
.LBB17_2:                               ; =>This Inner Loop Header: Depth=1
	v_sub_u32_e32 v16, v14, v13
	v_lshrrev_b32_e32 v16, 1, v16
	v_add_u32_e32 v16, v16, v13
	v_not_b32_e32 v18, v16
	v_lshl_add_u32 v17, v16, 2, v12
	v_lshl_add_u32 v18, v18, 2, v15
	ds_read_b32 v17, v17
	ds_read_b32 v18, v18
	v_add_u32_e32 v19, 1, v16
	s_waitcnt lgkmcnt(0)
	v_cmp_gt_f32_e64 s[0:1], v18, v17
	v_cndmask_b32_e64 v14, v14, v16, s[0:1]
	v_cndmask_b32_e64 v13, v19, v13, s[0:1]
	v_cmp_ge_i32_e64 s[0:1], v13, v14
	s_or_b64 s[4:5], s[0:1], s[4:5]
	s_andn2_b64 exec, exec, s[4:5]
	s_cbranch_execnz .LBB17_2
; %bb.3:
	s_or_b64 exec, exec, s[4:5]
.LBB17_4:
	s_or_b64 exec, exec, s[2:3]
	v_add_u32_e32 v11, v8, v11
	v_sub_u32_e32 v11, v11, v13
	v_lshl_add_u32 v18, v13, 2, v12
	v_lshlrev_b32_e32 v17, 2, v11
	ds_read_b32 v15, v18
	ds_read_b32 v16, v17
	v_add_u32_e32 v10, v13, v10
	v_cmp_le_i32_e64 s[2:3], v8, v10
	v_cmp_gt_i32_e64 s[0:1], v9, v11
	s_waitcnt vmcnt(0)
	v_lshrrev_b16_e32 v14, 8, v7
	s_waitcnt lgkmcnt(0)
	v_cmp_gt_f32_e64 s[4:5], v16, v15
	s_or_b64 s[2:3], s[2:3], s[4:5]
	s_and_b64 s[0:1], s[0:1], s[2:3]
	s_xor_b64 s[2:3], s[0:1], -1
                                        ; implicit-def: $vgpr12
	s_and_saveexec_b64 s[4:5], s[2:3]
	s_xor_b64 s[2:3], exec, s[4:5]
; %bb.5:
	ds_read_b32 v12, v18 offset:4
                                        ; implicit-def: $vgpr17
; %bb.6:
	s_or_saveexec_b64 s[2:3], s[2:3]
	v_mov_b32_e32 v13, v16
	s_xor_b64 exec, exec, s[2:3]
	s_cbranch_execz .LBB17_8
; %bb.7:
	ds_read_b32 v13, v17 offset:4
	s_waitcnt lgkmcnt(1)
	v_mov_b32_e32 v12, v15
.LBB17_8:
	s_or_b64 exec, exec, s[2:3]
	v_cndmask_b32_e64 v15, v15, v16, s[0:1]
	v_add_u32_e32 v16, 1, v11
	v_add_u32_e32 v17, 1, v10
	v_cndmask_b32_e64 v16, v11, v16, s[0:1]
	v_cndmask_b32_e64 v17, v17, v10, s[0:1]
	;; [unrolled: 1-line block ×3, first 2 shown]
	v_lshlrev_b16_e32 v11, 8, v7
	s_mov_b32 s0, 0xc0c0004
	v_or_b32_e32 v11, v14, v11
	v_perm_b32 v7, v7, v14, s0
	v_cmp_ge_i32_e64 s[0:1], v17, v8
	s_waitcnt lgkmcnt(0)
	v_cmp_gt_f32_e64 s[2:3], v13, v12
	v_cndmask_b32_e32 v7, v7, v11, vcc
	v_cmp_lt_i32_e32 vcc, v16, v9
	s_or_b64 s[0:1], s[0:1], s[2:3]
	s_and_b64 vcc, vcc, s[0:1]
	v_mad_i32_i24 v11, v0, -6, v5
	v_cndmask_b32_e32 v9, v12, v13, vcc
	v_cndmask_b32_e32 v8, v17, v16, vcc
	; wave barrier
	ds_write_b16 v11, v7
	v_and_b32_e32 v11, 0x78, v6
	s_waitcnt lgkmcnt(0)
	; wave barrier
	ds_read_u8 v7, v10
	ds_read_u8 v8, v8
	s_waitcnt lgkmcnt(0)
	; wave barrier
	ds_write2_b32 v5, v15, v9 offset1:1
	v_or_b32_e32 v9, 4, v11
	v_add_u32_e32 v10, 8, v11
	v_and_b32_e32 v12, 6, v6
	v_sub_u32_e32 v13, v10, v9
	v_sub_u32_e32 v15, v9, v11
	;; [unrolled: 1-line block ×3, first 2 shown]
	v_cmp_ge_i32_e32 vcc, v12, v13
	v_cndmask_b32_e32 v13, 0, v16, vcc
	v_min_i32_e32 v15, v12, v15
	v_lshlrev_b32_e32 v14, 2, v11
	v_cmp_lt_i32_e32 vcc, v13, v15
	s_waitcnt lgkmcnt(0)
	; wave barrier
	s_and_saveexec_b64 s[0:1], vcc
	s_cbranch_execz .LBB17_12
; %bb.9:
	v_lshlrev_b32_e32 v16, 2, v12
	v_lshl_add_u32 v16, v9, 2, v16
	s_mov_b64 s[2:3], 0
.LBB17_10:                              ; =>This Inner Loop Header: Depth=1
	v_sub_u32_e32 v17, v15, v13
	v_lshrrev_b32_e32 v17, 1, v17
	v_add_u32_e32 v17, v17, v13
	v_not_b32_e32 v19, v17
	v_lshl_add_u32 v18, v17, 2, v14
	v_lshl_add_u32 v19, v19, 2, v16
	ds_read_b32 v18, v18
	ds_read_b32 v19, v19
	v_add_u32_e32 v20, 1, v17
	s_waitcnt lgkmcnt(0)
	v_cmp_gt_f32_e32 vcc, v19, v18
	v_cndmask_b32_e32 v15, v15, v17, vcc
	v_cndmask_b32_e32 v13, v20, v13, vcc
	v_cmp_ge_i32_e32 vcc, v13, v15
	s_or_b64 s[2:3], vcc, s[2:3]
	s_andn2_b64 exec, exec, s[2:3]
	s_cbranch_execnz .LBB17_10
; %bb.11:
	s_or_b64 exec, exec, s[2:3]
.LBB17_12:
	s_or_b64 exec, exec, s[0:1]
	v_add_u32_e32 v12, v9, v12
	v_sub_u32_e32 v12, v12, v13
	v_lshl_add_u32 v17, v13, 2, v14
	v_lshlrev_b32_e32 v16, 2, v12
	ds_read_b32 v14, v17
	ds_read_b32 v15, v16
	v_add_u32_e32 v11, v13, v11
	v_cmp_le_i32_e64 s[0:1], v9, v11
	v_cmp_gt_i32_e32 vcc, v10, v12
	v_mul_i32_i24_e32 v0, -6, v0
	s_waitcnt lgkmcnt(0)
	v_cmp_gt_f32_e64 s[2:3], v15, v14
	s_or_b64 s[0:1], s[0:1], s[2:3]
	s_and_b64 vcc, vcc, s[0:1]
	s_xor_b64 s[0:1], vcc, -1
                                        ; implicit-def: $vgpr13
	s_and_saveexec_b64 s[2:3], s[0:1]
	s_xor_b64 s[0:1], exec, s[2:3]
; %bb.13:
	ds_read_b32 v13, v17 offset:4
                                        ; implicit-def: $vgpr16
; %bb.14:
	s_or_saveexec_b64 s[0:1], s[0:1]
	v_mov_b32_e32 v17, v15
	s_xor_b64 exec, exec, s[0:1]
	s_cbranch_execz .LBB17_16
; %bb.15:
	ds_read_b32 v17, v16 offset:4
	s_waitcnt lgkmcnt(1)
	v_mov_b32_e32 v13, v14
.LBB17_16:
	s_or_b64 exec, exec, s[0:1]
	v_add_u32_e32 v16, 1, v11
	v_cndmask_b32_e32 v14, v14, v15, vcc
	v_add_u32_e32 v15, 1, v12
	v_cndmask_b32_e32 v16, v16, v11, vcc
	v_cndmask_b32_e32 v15, v12, v15, vcc
	v_cmp_ge_i32_e64 s[0:1], v16, v9
	s_waitcnt lgkmcnt(0)
	v_cmp_gt_f32_e64 s[2:3], v17, v13
	v_cndmask_b32_e32 v11, v11, v12, vcc
	v_cmp_lt_i32_e32 vcc, v15, v10
	s_or_b64 s[0:1], s[0:1], s[2:3]
	v_lshlrev_b16_e32 v8, 8, v8
	s_and_b64 vcc, vcc, s[0:1]
	v_add_u32_e32 v0, v5, v0
	v_or_b32_sdwa v7, v7, v8 dst_sel:DWORD dst_unused:UNUSED_PAD src0_sel:BYTE_0 src1_sel:DWORD
	v_cndmask_b32_e32 v9, v13, v17, vcc
	v_cndmask_b32_e32 v10, v16, v15, vcc
	; wave barrier
	ds_write_b16 v0, v7
	s_waitcnt lgkmcnt(0)
	; wave barrier
	ds_read_u8 v7, v11
	ds_read_u8 v8, v10
	v_and_b32_e32 v11, 0x70, v6
	s_waitcnt lgkmcnt(0)
	; wave barrier
	ds_write2_b32 v5, v14, v9 offset1:1
	v_or_b32_e32 v9, 8, v11
	v_add_u32_e32 v10, 16, v11
	v_and_b32_e32 v12, 14, v6
	v_sub_u32_e32 v13, v10, v9
	v_sub_u32_e32 v15, v9, v11
	;; [unrolled: 1-line block ×3, first 2 shown]
	v_cmp_ge_i32_e32 vcc, v12, v13
	v_cndmask_b32_e32 v13, 0, v16, vcc
	v_min_i32_e32 v15, v12, v15
	v_lshlrev_b32_e32 v14, 2, v11
	v_cmp_lt_i32_e32 vcc, v13, v15
	s_waitcnt lgkmcnt(0)
	; wave barrier
	s_and_saveexec_b64 s[0:1], vcc
	s_cbranch_execz .LBB17_20
; %bb.17:
	v_lshlrev_b32_e32 v16, 2, v12
	v_lshl_add_u32 v16, v9, 2, v16
	s_mov_b64 s[2:3], 0
.LBB17_18:                              ; =>This Inner Loop Header: Depth=1
	v_sub_u32_e32 v17, v15, v13
	v_lshrrev_b32_e32 v17, 1, v17
	v_add_u32_e32 v17, v17, v13
	v_not_b32_e32 v19, v17
	v_lshl_add_u32 v18, v17, 2, v14
	v_lshl_add_u32 v19, v19, 2, v16
	ds_read_b32 v18, v18
	ds_read_b32 v19, v19
	v_add_u32_e32 v20, 1, v17
	s_waitcnt lgkmcnt(0)
	v_cmp_gt_f32_e32 vcc, v19, v18
	v_cndmask_b32_e32 v15, v15, v17, vcc
	v_cndmask_b32_e32 v13, v20, v13, vcc
	v_cmp_ge_i32_e32 vcc, v13, v15
	s_or_b64 s[2:3], vcc, s[2:3]
	s_andn2_b64 exec, exec, s[2:3]
	s_cbranch_execnz .LBB17_18
; %bb.19:
	s_or_b64 exec, exec, s[2:3]
.LBB17_20:
	s_or_b64 exec, exec, s[0:1]
	v_add_u32_e32 v12, v9, v12
	v_sub_u32_e32 v12, v12, v13
	v_lshl_add_u32 v17, v13, 2, v14
	v_lshlrev_b32_e32 v16, 2, v12
	ds_read_b32 v14, v17
	ds_read_b32 v15, v16
	v_add_u32_e32 v11, v13, v11
	v_cmp_le_i32_e64 s[0:1], v9, v11
	v_cmp_gt_i32_e32 vcc, v10, v12
                                        ; implicit-def: $vgpr13
	s_waitcnt lgkmcnt(0)
	v_cmp_gt_f32_e64 s[2:3], v15, v14
	s_or_b64 s[0:1], s[0:1], s[2:3]
	s_and_b64 vcc, vcc, s[0:1]
	s_xor_b64 s[0:1], vcc, -1
	s_and_saveexec_b64 s[2:3], s[0:1]
	s_xor_b64 s[0:1], exec, s[2:3]
; %bb.21:
	ds_read_b32 v13, v17 offset:4
                                        ; implicit-def: $vgpr16
; %bb.22:
	s_or_saveexec_b64 s[0:1], s[0:1]
	v_mov_b32_e32 v17, v15
	s_xor_b64 exec, exec, s[0:1]
	s_cbranch_execz .LBB17_24
; %bb.23:
	ds_read_b32 v17, v16 offset:4
	s_waitcnt lgkmcnt(1)
	v_mov_b32_e32 v13, v14
.LBB17_24:
	s_or_b64 exec, exec, s[0:1]
	v_add_u32_e32 v16, 1, v11
	v_cndmask_b32_e32 v14, v14, v15, vcc
	v_add_u32_e32 v15, 1, v12
	v_cndmask_b32_e32 v16, v16, v11, vcc
	v_cndmask_b32_e32 v15, v12, v15, vcc
	v_cmp_ge_i32_e64 s[0:1], v16, v9
	s_waitcnt lgkmcnt(0)
	v_cmp_gt_f32_e64 s[2:3], v17, v13
	v_cndmask_b32_e32 v11, v11, v12, vcc
	v_cmp_lt_i32_e32 vcc, v15, v10
	s_or_b64 s[0:1], s[0:1], s[2:3]
	v_lshlrev_b16_e32 v8, 8, v8
	s_and_b64 vcc, vcc, s[0:1]
	v_or_b32_sdwa v7, v7, v8 dst_sel:DWORD dst_unused:UNUSED_PAD src0_sel:BYTE_0 src1_sel:DWORD
	v_cndmask_b32_e32 v9, v13, v17, vcc
	v_cndmask_b32_e32 v10, v16, v15, vcc
	; wave barrier
	ds_write_b16 v0, v7
	s_waitcnt lgkmcnt(0)
	; wave barrier
	ds_read_u8 v7, v11
	ds_read_u8 v8, v10
	v_and_b32_e32 v11, 0x60, v6
	s_waitcnt lgkmcnt(0)
	; wave barrier
	ds_write2_b32 v5, v14, v9 offset1:1
	v_or_b32_e32 v9, 16, v11
	v_add_u32_e32 v10, 32, v11
	v_and_b32_e32 v12, 30, v6
	v_sub_u32_e32 v13, v10, v9
	v_sub_u32_e32 v15, v9, v11
	;; [unrolled: 1-line block ×3, first 2 shown]
	v_cmp_ge_i32_e32 vcc, v12, v13
	v_cndmask_b32_e32 v13, 0, v16, vcc
	v_min_i32_e32 v15, v12, v15
	v_lshlrev_b32_e32 v14, 2, v11
	v_cmp_lt_i32_e32 vcc, v13, v15
	s_waitcnt lgkmcnt(0)
	; wave barrier
	s_and_saveexec_b64 s[0:1], vcc
	s_cbranch_execz .LBB17_28
; %bb.25:
	v_lshlrev_b32_e32 v16, 2, v12
	v_lshl_add_u32 v16, v9, 2, v16
	s_mov_b64 s[2:3], 0
.LBB17_26:                              ; =>This Inner Loop Header: Depth=1
	v_sub_u32_e32 v17, v15, v13
	v_lshrrev_b32_e32 v17, 1, v17
	v_add_u32_e32 v17, v17, v13
	v_not_b32_e32 v19, v17
	v_lshl_add_u32 v18, v17, 2, v14
	v_lshl_add_u32 v19, v19, 2, v16
	ds_read_b32 v18, v18
	ds_read_b32 v19, v19
	v_add_u32_e32 v20, 1, v17
	s_waitcnt lgkmcnt(0)
	v_cmp_gt_f32_e32 vcc, v19, v18
	v_cndmask_b32_e32 v15, v15, v17, vcc
	v_cndmask_b32_e32 v13, v20, v13, vcc
	v_cmp_ge_i32_e32 vcc, v13, v15
	s_or_b64 s[2:3], vcc, s[2:3]
	s_andn2_b64 exec, exec, s[2:3]
	s_cbranch_execnz .LBB17_26
; %bb.27:
	s_or_b64 exec, exec, s[2:3]
.LBB17_28:
	s_or_b64 exec, exec, s[0:1]
	v_add_u32_e32 v12, v9, v12
	v_sub_u32_e32 v12, v12, v13
	v_lshl_add_u32 v17, v13, 2, v14
	v_lshlrev_b32_e32 v16, 2, v12
	ds_read_b32 v14, v17
	ds_read_b32 v15, v16
	v_add_u32_e32 v11, v13, v11
	v_cmp_le_i32_e64 s[0:1], v9, v11
	v_cmp_gt_i32_e32 vcc, v10, v12
                                        ; implicit-def: $vgpr13
	s_waitcnt lgkmcnt(0)
	v_cmp_gt_f32_e64 s[2:3], v15, v14
	s_or_b64 s[0:1], s[0:1], s[2:3]
	s_and_b64 vcc, vcc, s[0:1]
	s_xor_b64 s[0:1], vcc, -1
	s_and_saveexec_b64 s[2:3], s[0:1]
	s_xor_b64 s[0:1], exec, s[2:3]
; %bb.29:
	ds_read_b32 v13, v17 offset:4
                                        ; implicit-def: $vgpr16
; %bb.30:
	s_or_saveexec_b64 s[0:1], s[0:1]
	v_mov_b32_e32 v17, v15
	s_xor_b64 exec, exec, s[0:1]
	s_cbranch_execz .LBB17_32
; %bb.31:
	ds_read_b32 v17, v16 offset:4
	s_waitcnt lgkmcnt(1)
	v_mov_b32_e32 v13, v14
.LBB17_32:
	s_or_b64 exec, exec, s[0:1]
	v_add_u32_e32 v16, 1, v11
	v_cndmask_b32_e32 v14, v14, v15, vcc
	v_add_u32_e32 v15, 1, v12
	v_cndmask_b32_e32 v16, v16, v11, vcc
	v_cndmask_b32_e32 v15, v12, v15, vcc
	v_cmp_ge_i32_e64 s[0:1], v16, v9
	s_waitcnt lgkmcnt(0)
	v_cmp_gt_f32_e64 s[2:3], v17, v13
	v_cndmask_b32_e32 v11, v11, v12, vcc
	v_cmp_lt_i32_e32 vcc, v15, v10
	s_or_b64 s[0:1], s[0:1], s[2:3]
	v_lshlrev_b16_e32 v8, 8, v8
	s_and_b64 vcc, vcc, s[0:1]
	v_or_b32_sdwa v7, v7, v8 dst_sel:DWORD dst_unused:UNUSED_PAD src0_sel:BYTE_0 src1_sel:DWORD
	v_cndmask_b32_e32 v9, v13, v17, vcc
	v_cndmask_b32_e32 v10, v16, v15, vcc
	; wave barrier
	ds_write_b16 v0, v7
	s_waitcnt lgkmcnt(0)
	; wave barrier
	ds_read_u8 v7, v11
	ds_read_u8 v8, v10
	v_and_b32_e32 v11, 64, v6
	s_waitcnt lgkmcnt(0)
	; wave barrier
	ds_write2_b32 v5, v14, v9 offset1:1
	v_or_b32_e32 v9, 32, v11
	v_add_u32_e32 v10, 64, v11
	v_and_b32_e32 v12, 62, v6
	v_sub_u32_e32 v13, v10, v9
	v_sub_u32_e32 v15, v9, v11
	;; [unrolled: 1-line block ×3, first 2 shown]
	v_cmp_ge_i32_e32 vcc, v12, v13
	v_cndmask_b32_e32 v13, 0, v16, vcc
	v_min_i32_e32 v15, v12, v15
	v_lshlrev_b32_e32 v14, 2, v11
	v_cmp_lt_i32_e32 vcc, v13, v15
	s_waitcnt lgkmcnt(0)
	; wave barrier
	s_and_saveexec_b64 s[0:1], vcc
	s_cbranch_execz .LBB17_36
; %bb.33:
	v_lshlrev_b32_e32 v16, 2, v12
	v_lshl_add_u32 v16, v9, 2, v16
	s_mov_b64 s[2:3], 0
.LBB17_34:                              ; =>This Inner Loop Header: Depth=1
	v_sub_u32_e32 v17, v15, v13
	v_lshrrev_b32_e32 v17, 1, v17
	v_add_u32_e32 v17, v17, v13
	v_not_b32_e32 v19, v17
	v_lshl_add_u32 v18, v17, 2, v14
	v_lshl_add_u32 v19, v19, 2, v16
	ds_read_b32 v18, v18
	ds_read_b32 v19, v19
	v_add_u32_e32 v20, 1, v17
	s_waitcnt lgkmcnt(0)
	v_cmp_gt_f32_e32 vcc, v19, v18
	v_cndmask_b32_e32 v15, v15, v17, vcc
	v_cndmask_b32_e32 v13, v20, v13, vcc
	v_cmp_ge_i32_e32 vcc, v13, v15
	s_or_b64 s[2:3], vcc, s[2:3]
	s_andn2_b64 exec, exec, s[2:3]
	s_cbranch_execnz .LBB17_34
; %bb.35:
	s_or_b64 exec, exec, s[2:3]
.LBB17_36:
	s_or_b64 exec, exec, s[0:1]
	v_add_u32_e32 v12, v9, v12
	v_sub_u32_e32 v12, v12, v13
	v_lshl_add_u32 v17, v13, 2, v14
	v_lshlrev_b32_e32 v16, 2, v12
	ds_read_b32 v14, v17
	ds_read_b32 v15, v16
	v_add_u32_e32 v11, v13, v11
	v_cmp_le_i32_e64 s[0:1], v9, v11
	v_cmp_gt_i32_e32 vcc, v10, v12
                                        ; implicit-def: $vgpr13
	s_waitcnt lgkmcnt(0)
	v_cmp_gt_f32_e64 s[2:3], v15, v14
	s_or_b64 s[0:1], s[0:1], s[2:3]
	s_and_b64 vcc, vcc, s[0:1]
	s_xor_b64 s[0:1], vcc, -1
	s_and_saveexec_b64 s[2:3], s[0:1]
	s_xor_b64 s[0:1], exec, s[2:3]
; %bb.37:
	ds_read_b32 v13, v17 offset:4
                                        ; implicit-def: $vgpr16
; %bb.38:
	s_or_saveexec_b64 s[0:1], s[0:1]
	v_mov_b32_e32 v17, v15
	s_xor_b64 exec, exec, s[0:1]
	s_cbranch_execz .LBB17_40
; %bb.39:
	ds_read_b32 v17, v16 offset:4
	s_waitcnt lgkmcnt(1)
	v_mov_b32_e32 v13, v14
.LBB17_40:
	s_or_b64 exec, exec, s[0:1]
	v_add_u32_e32 v16, 1, v11
	v_cndmask_b32_e32 v14, v14, v15, vcc
	v_add_u32_e32 v15, 1, v12
	v_cndmask_b32_e32 v16, v16, v11, vcc
	v_cndmask_b32_e32 v15, v12, v15, vcc
	v_cmp_ge_i32_e64 s[0:1], v16, v9
	s_waitcnt lgkmcnt(0)
	v_cmp_gt_f32_e64 s[2:3], v17, v13
	v_cndmask_b32_e32 v11, v11, v12, vcc
	v_cmp_lt_i32_e32 vcc, v15, v10
	s_or_b64 s[0:1], s[0:1], s[2:3]
	v_lshlrev_b16_e32 v8, 8, v8
	s_and_b64 vcc, vcc, s[0:1]
	v_or_b32_sdwa v7, v7, v8 dst_sel:DWORD dst_unused:UNUSED_PAD src0_sel:BYTE_0 src1_sel:DWORD
	v_cndmask_b32_e32 v10, v16, v15, vcc
	; wave barrier
	ds_write_b16 v0, v7
	s_waitcnt lgkmcnt(0)
	; wave barrier
	ds_read_u8 v7, v11
	ds_read_u8 v8, v10
	v_cndmask_b32_e32 v9, v13, v17, vcc
	s_waitcnt lgkmcnt(0)
	; wave barrier
	ds_write2_b32 v5, v14, v9 offset1:1
	v_and_b32_e32 v5, 0x7e, v6
	v_sub_u32_e64 v6, v5, 64 clamp
	v_min_i32_e32 v9, 64, v5
	v_cmp_lt_i32_e32 vcc, v6, v9
	s_waitcnt lgkmcnt(0)
	; wave barrier
	s_and_saveexec_b64 s[0:1], vcc
	s_cbranch_execz .LBB17_44
; %bb.41:
	v_lshlrev_b32_e32 v10, 2, v5
	v_lshl_add_u32 v10, 64, 2, v10
	s_mov_b64 s[2:3], 0
.LBB17_42:                              ; =>This Inner Loop Header: Depth=1
	v_sub_u32_e32 v11, v9, v6
	v_lshrrev_b32_e32 v11, 1, v11
	v_add_u32_e32 v11, v11, v6
	v_not_b32_e32 v13, v11
	v_lshlrev_b32_e32 v12, 2, v11
	v_lshl_add_u32 v13, v13, 2, v10
	ds_read_b32 v12, v12
	ds_read_b32 v13, v13
	v_add_u32_e32 v14, 1, v11
	s_waitcnt lgkmcnt(0)
	v_cmp_gt_f32_e32 vcc, v13, v12
	v_cndmask_b32_e32 v9, v9, v11, vcc
	v_cndmask_b32_e32 v6, v14, v6, vcc
	v_cmp_ge_i32_e32 vcc, v6, v9
	s_or_b64 s[2:3], vcc, s[2:3]
	s_andn2_b64 exec, exec, s[2:3]
	s_cbranch_execnz .LBB17_42
; %bb.43:
	s_or_b64 exec, exec, s[2:3]
.LBB17_44:
	s_or_b64 exec, exec, s[0:1]
	v_add_u32_e32 v5, 64, v5
	v_sub_u32_e32 v9, v5, v6
	v_lshlrev_b32_e32 v5, 2, v6
	v_lshlrev_b32_e32 v14, 2, v9
	ds_read_b32 v11, v5
	ds_read_b32 v10, v14
	s_movk_i32 s0, 0x7f
	v_cmp_lt_i32_e32 vcc, s0, v9
	v_cmp_gt_i32_e64 s[0:1], 64, v6
                                        ; implicit-def: $vgpr13
                                        ; implicit-def: $vgpr12
	s_waitcnt lgkmcnt(0)
	v_cmp_ngt_f32_e64 s[2:3], v10, v11
	s_and_b64 s[0:1], s[0:1], s[2:3]
	s_or_b64 s[0:1], vcc, s[0:1]
	s_and_saveexec_b64 s[2:3], s[0:1]
	s_xor_b64 s[0:1], exec, s[2:3]
; %bb.45:
	ds_read_b32 v13, v5 offset:4
	v_add_u32_e32 v12, 1, v6
                                        ; implicit-def: $vgpr14
; %bb.46:
	s_or_saveexec_b64 s[0:1], s[0:1]
	v_mov_b32_e32 v5, v11
	v_mov_b32_e32 v15, v6
	s_xor_b64 exec, exec, s[0:1]
	s_cbranch_execz .LBB17_48
; %bb.47:
	ds_read_b32 v14, v14 offset:4
	s_waitcnt lgkmcnt(1)
	v_add_u32_e32 v13, 1, v9
	v_mov_b32_e32 v5, v10
	v_mov_b32_e32 v15, v9
	;; [unrolled: 1-line block ×5, first 2 shown]
	s_waitcnt lgkmcnt(0)
	v_mov_b32_e32 v10, v14
.LBB17_48:
	s_or_b64 exec, exec, s[0:1]
	s_movk_i32 s0, 0x80
	v_cmp_gt_i32_e32 vcc, s0, v9
	v_cmp_le_i32_e64 s[0:1], 64, v12
	s_waitcnt lgkmcnt(0)
	v_cmp_gt_f32_e64 s[2:3], v10, v13
	s_or_b64 s[0:1], s[0:1], s[2:3]
	s_and_b64 vcc, vcc, s[0:1]
	v_lshlrev_b16_e32 v8, 8, v8
	v_cndmask_b32_e32 v9, v12, v9, vcc
	v_or_b32_sdwa v7, v7, v8 dst_sel:DWORD dst_unused:UNUSED_PAD src0_sel:BYTE_0 src1_sel:DWORD
	; wave barrier
	ds_write_b16 v0, v7
	s_waitcnt lgkmcnt(0)
	; wave barrier
	ds_read_u8 v0, v9
	ds_read_u8 v7, v15
	v_cndmask_b32_e32 v6, v13, v10, vcc
	global_store_dwordx2 v[1:2], v[5:6], off
	s_waitcnt lgkmcnt(1)
	v_lshlrev_b16_e32 v0, 8, v0
	s_waitcnt lgkmcnt(0)
	v_or_b32_e32 v0, v7, v0
	global_store_short v[3:4], v0, off
	s_endpgm
	.section	.rodata,"a",@progbits
	.p2align	6, 0x0
	.amdhsa_kernel _Z21sort_key_value_kernelILj64ELj2EfcN10test_utils7greaterEEvPT1_PT2_T3_
		.amdhsa_group_segment_fixed_size 516
		.amdhsa_private_segment_fixed_size 0
		.amdhsa_kernarg_size 20
		.amdhsa_user_sgpr_count 6
		.amdhsa_user_sgpr_private_segment_buffer 1
		.amdhsa_user_sgpr_dispatch_ptr 0
		.amdhsa_user_sgpr_queue_ptr 0
		.amdhsa_user_sgpr_kernarg_segment_ptr 1
		.amdhsa_user_sgpr_dispatch_id 0
		.amdhsa_user_sgpr_flat_scratch_init 0
		.amdhsa_user_sgpr_private_segment_size 0
		.amdhsa_uses_dynamic_stack 0
		.amdhsa_system_sgpr_private_segment_wavefront_offset 0
		.amdhsa_system_sgpr_workgroup_id_x 1
		.amdhsa_system_sgpr_workgroup_id_y 0
		.amdhsa_system_sgpr_workgroup_id_z 0
		.amdhsa_system_sgpr_workgroup_info 0
		.amdhsa_system_vgpr_workitem_id 0
		.amdhsa_next_free_vgpr 21
		.amdhsa_next_free_sgpr 8
		.amdhsa_reserve_vcc 1
		.amdhsa_reserve_flat_scratch 0
		.amdhsa_float_round_mode_32 0
		.amdhsa_float_round_mode_16_64 0
		.amdhsa_float_denorm_mode_32 3
		.amdhsa_float_denorm_mode_16_64 3
		.amdhsa_dx10_clamp 1
		.amdhsa_ieee_mode 1
		.amdhsa_fp16_overflow 0
		.amdhsa_exception_fp_ieee_invalid_op 0
		.amdhsa_exception_fp_denorm_src 0
		.amdhsa_exception_fp_ieee_div_zero 0
		.amdhsa_exception_fp_ieee_overflow 0
		.amdhsa_exception_fp_ieee_underflow 0
		.amdhsa_exception_fp_ieee_inexact 0
		.amdhsa_exception_int_div_zero 0
	.end_amdhsa_kernel
	.section	.text._Z21sort_key_value_kernelILj64ELj2EfcN10test_utils7greaterEEvPT1_PT2_T3_,"axG",@progbits,_Z21sort_key_value_kernelILj64ELj2EfcN10test_utils7greaterEEvPT1_PT2_T3_,comdat
.Lfunc_end17:
	.size	_Z21sort_key_value_kernelILj64ELj2EfcN10test_utils7greaterEEvPT1_PT2_T3_, .Lfunc_end17-_Z21sort_key_value_kernelILj64ELj2EfcN10test_utils7greaterEEvPT1_PT2_T3_
                                        ; -- End function
	.set _Z21sort_key_value_kernelILj64ELj2EfcN10test_utils7greaterEEvPT1_PT2_T3_.num_vgpr, 21
	.set _Z21sort_key_value_kernelILj64ELj2EfcN10test_utils7greaterEEvPT1_PT2_T3_.num_agpr, 0
	.set _Z21sort_key_value_kernelILj64ELj2EfcN10test_utils7greaterEEvPT1_PT2_T3_.numbered_sgpr, 8
	.set _Z21sort_key_value_kernelILj64ELj2EfcN10test_utils7greaterEEvPT1_PT2_T3_.num_named_barrier, 0
	.set _Z21sort_key_value_kernelILj64ELj2EfcN10test_utils7greaterEEvPT1_PT2_T3_.private_seg_size, 0
	.set _Z21sort_key_value_kernelILj64ELj2EfcN10test_utils7greaterEEvPT1_PT2_T3_.uses_vcc, 1
	.set _Z21sort_key_value_kernelILj64ELj2EfcN10test_utils7greaterEEvPT1_PT2_T3_.uses_flat_scratch, 0
	.set _Z21sort_key_value_kernelILj64ELj2EfcN10test_utils7greaterEEvPT1_PT2_T3_.has_dyn_sized_stack, 0
	.set _Z21sort_key_value_kernelILj64ELj2EfcN10test_utils7greaterEEvPT1_PT2_T3_.has_recursion, 0
	.set _Z21sort_key_value_kernelILj64ELj2EfcN10test_utils7greaterEEvPT1_PT2_T3_.has_indirect_call, 0
	.section	.AMDGPU.csdata,"",@progbits
; Kernel info:
; codeLenInByte = 2684
; TotalNumSgprs: 12
; NumVgprs: 21
; ScratchSize: 0
; MemoryBound: 0
; FloatMode: 240
; IeeeMode: 1
; LDSByteSize: 516 bytes/workgroup (compile time only)
; SGPRBlocks: 1
; VGPRBlocks: 5
; NumSGPRsForWavesPerEU: 12
; NumVGPRsForWavesPerEU: 21
; Occupancy: 10
; WaveLimiterHint : 0
; COMPUTE_PGM_RSRC2:SCRATCH_EN: 0
; COMPUTE_PGM_RSRC2:USER_SGPR: 6
; COMPUTE_PGM_RSRC2:TRAP_HANDLER: 0
; COMPUTE_PGM_RSRC2:TGID_X_EN: 1
; COMPUTE_PGM_RSRC2:TGID_Y_EN: 0
; COMPUTE_PGM_RSRC2:TGID_Z_EN: 0
; COMPUTE_PGM_RSRC2:TIDIG_COMP_CNT: 0
	.section	.text._Z21sort_key_value_kernelILj1024ELj1EtcN10test_utils7greaterEEvPT1_PT2_T3_,"axG",@progbits,_Z21sort_key_value_kernelILj1024ELj1EtcN10test_utils7greaterEEvPT1_PT2_T3_,comdat
	.protected	_Z21sort_key_value_kernelILj1024ELj1EtcN10test_utils7greaterEEvPT1_PT2_T3_ ; -- Begin function _Z21sort_key_value_kernelILj1024ELj1EtcN10test_utils7greaterEEvPT1_PT2_T3_
	.globl	_Z21sort_key_value_kernelILj1024ELj1EtcN10test_utils7greaterEEvPT1_PT2_T3_
	.p2align	8
	.type	_Z21sort_key_value_kernelILj1024ELj1EtcN10test_utils7greaterEEvPT1_PT2_T3_,@function
_Z21sort_key_value_kernelILj1024ELj1EtcN10test_utils7greaterEEvPT1_PT2_T3_: ; @_Z21sort_key_value_kernelILj1024ELj1EtcN10test_utils7greaterEEvPT1_PT2_T3_
; %bb.0:
	s_load_dwordx4 s[0:3], s[4:5], 0x0
	s_lshl_b32 s4, s6, 10
	s_mov_b32 s5, 0
	s_lshl_b64 s[6:7], s[4:5], 1
	v_lshlrev_b32_e32 v5, 1, v0
	s_waitcnt lgkmcnt(0)
	s_add_u32 s0, s0, s6
	s_addc_u32 s1, s1, s7
	global_load_ushort v11, v5, s[0:1]
	s_add_u32 s2, s2, s4
	s_addc_u32 s3, s3, 0
	global_load_ubyte v6, v0, s[2:3]
	v_mov_b32_e32 v2, s1
	v_add_co_u32_e32 v1, vcc, s0, v5
	v_and_b32_e32 v9, 0x3fe, v0
	v_or_b32_e32 v8, 1, v0
	v_addc_co_u32_e32 v2, vcc, 0, v2, vcc
	v_and_b32_e32 v12, 1, v0
	v_sub_u32_e32 v13, v8, v9
	v_mov_b32_e32 v4, s3
	v_add_co_u32_e32 v3, vcc, s2, v0
	s_waitcnt vmcnt(0)
	s_barrier
	v_addc_co_u32_e32 v4, vcc, 0, v4, vcc
	v_mov_b32_e32 v7, 0
	v_lshlrev_b32_e32 v10, 1, v9
	ds_write_b16 v5, v11
	v_min_i32_e32 v11, v12, v13
	v_cmp_lt_i32_e32 vcc, 0, v11
	s_waitcnt lgkmcnt(0)
	s_barrier
	s_and_saveexec_b64 s[0:1], vcc
	s_cbranch_execz .LBB18_4
; %bb.1:
	v_lshlrev_b32_e32 v7, 1, v12
	v_mov_b32_e32 v11, 1
	v_lshl_add_u32 v12, v8, 1, v7
	v_mov_b32_e32 v7, 0
	s_mov_b64 s[2:3], 0
.LBB18_2:                               ; =>This Inner Loop Header: Depth=1
	v_sub_u32_e32 v13, v11, v7
	v_lshrrev_b32_e32 v13, 1, v13
	v_add_u32_e32 v13, v13, v7
	v_not_b32_e32 v15, v13
	v_lshl_add_u32 v14, v13, 1, v10
	v_lshl_add_u32 v15, v15, 1, v12
	ds_read_u16 v14, v14
	ds_read_u16 v15, v15
	v_add_u32_e32 v16, 1, v13
	s_waitcnt lgkmcnt(0)
	v_cmp_gt_u16_e32 vcc, v15, v14
	v_cndmask_b32_e32 v11, v11, v13, vcc
	v_cndmask_b32_e32 v7, v16, v7, vcc
	v_cmp_ge_i32_e32 vcc, v7, v11
	s_or_b64 s[2:3], vcc, s[2:3]
	s_andn2_b64 exec, exec, s[2:3]
	s_cbranch_execnz .LBB18_2
; %bb.3:
	s_or_b64 exec, exec, s[2:3]
.LBB18_4:
	s_or_b64 exec, exec, s[0:1]
	v_sub_u32_e32 v11, v0, v7
	v_lshl_add_u32 v10, v7, 1, v10
	v_lshlrev_b32_e32 v12, 1, v11
	ds_read_u16 v10, v10
	ds_read_u16 v12, v12 offset:2
	v_add_u32_e32 v7, v7, v9
	v_add_u32_e32 v9, 1, v11
	v_cmp_le_i32_e64 s[0:1], v8, v7
	v_cmp_ge_i32_e32 vcc, v8, v9
	s_waitcnt lgkmcnt(0)
	v_cmp_gt_u16_e64 s[2:3], v12, v10
	s_or_b64 s[0:1], s[0:1], s[2:3]
	s_and_b64 vcc, vcc, s[0:1]
	v_cndmask_b32_e32 v7, v7, v9, vcc
	v_cndmask_b32_e32 v8, v10, v12, vcc
	s_barrier
	ds_write_b8 v0, v6
	s_waitcnt lgkmcnt(0)
	s_barrier
	ds_read_u8 v6, v7
	v_and_b32_e32 v10, 0x3fc, v0
	s_waitcnt lgkmcnt(0)
	s_barrier
	ds_write_b16 v5, v8
	v_or_b32_e32 v8, 2, v10
	v_and_b32_e32 v7, 3, v0
	v_sub_u32_e32 v12, v8, v10
	v_sub_u32_e64 v9, v7, 2 clamp
	v_min_i32_e32 v12, v7, v12
	v_lshlrev_b32_e32 v11, 1, v10
	v_cmp_lt_i32_e32 vcc, v9, v12
	s_waitcnt lgkmcnt(0)
	s_barrier
	s_and_saveexec_b64 s[0:1], vcc
	s_cbranch_execz .LBB18_8
; %bb.5:
	v_lshl_add_u32 v13, v7, 1, v11
	s_mov_b64 s[2:3], 0
.LBB18_6:                               ; =>This Inner Loop Header: Depth=1
	v_sub_u32_e32 v14, v12, v9
	v_lshrrev_b32_e32 v14, 1, v14
	v_add_u32_e32 v14, v14, v9
	v_not_b32_e32 v16, v14
	v_lshl_add_u32 v15, v14, 1, v11
	v_lshl_add_u32 v16, v16, 1, v13
	ds_read_u16 v15, v15
	ds_read_u16 v16, v16 offset:4
	v_add_u32_e32 v17, 1, v14
	s_waitcnt lgkmcnt(0)
	v_cmp_gt_u16_e32 vcc, v16, v15
	v_cndmask_b32_e32 v12, v12, v14, vcc
	v_cndmask_b32_e32 v9, v17, v9, vcc
	v_cmp_ge_i32_e32 vcc, v9, v12
	s_or_b64 s[2:3], vcc, s[2:3]
	s_andn2_b64 exec, exec, s[2:3]
	s_cbranch_execnz .LBB18_6
; %bb.7:
	s_or_b64 exec, exec, s[2:3]
.LBB18_8:
	s_or_b64 exec, exec, s[0:1]
	v_add_u32_e32 v12, 4, v10
	v_add_u32_e32 v13, v9, v10
	v_add_u32_e32 v10, v10, v7
	v_sub_u32_e32 v10, v10, v9
	v_lshl_add_u32 v11, v9, 1, v11
	v_lshlrev_b32_e32 v10, 1, v10
	ds_read_u16 v11, v11
	ds_read_u16 v10, v10 offset:4
	v_add_u32_e32 v7, v8, v7
	v_sub_u32_e32 v7, v7, v9
	v_cmp_lt_i32_e64 s[0:1], 1, v9
	v_cmp_gt_i32_e32 vcc, v12, v7
	s_waitcnt lgkmcnt(0)
	v_cmp_gt_u16_e64 s[2:3], v10, v11
	s_or_b64 s[0:1], s[0:1], s[2:3]
	s_and_b64 vcc, vcc, s[0:1]
	v_cndmask_b32_e32 v7, v13, v7, vcc
	v_cndmask_b32_e32 v8, v11, v10, vcc
	s_barrier
	ds_write_b8 v0, v6
	s_waitcnt lgkmcnt(0)
	s_barrier
	ds_read_u8 v6, v7
	v_and_b32_e32 v10, 0x3f8, v0
	s_waitcnt lgkmcnt(0)
	s_barrier
	ds_write_b16 v5, v8
	v_or_b32_e32 v8, 4, v10
	v_and_b32_e32 v7, 7, v0
	v_sub_u32_e32 v12, v8, v10
	v_sub_u32_e64 v9, v7, 4 clamp
	v_min_i32_e32 v12, v7, v12
	v_lshlrev_b32_e32 v11, 1, v10
	v_cmp_lt_i32_e32 vcc, v9, v12
	s_waitcnt lgkmcnt(0)
	s_barrier
	s_and_saveexec_b64 s[0:1], vcc
	s_cbranch_execz .LBB18_12
; %bb.9:
	v_lshl_add_u32 v13, v7, 1, v11
	s_mov_b64 s[2:3], 0
.LBB18_10:                              ; =>This Inner Loop Header: Depth=1
	v_sub_u32_e32 v14, v12, v9
	v_lshrrev_b32_e32 v14, 1, v14
	v_add_u32_e32 v14, v14, v9
	v_not_b32_e32 v16, v14
	v_lshl_add_u32 v15, v14, 1, v11
	v_lshl_add_u32 v16, v16, 1, v13
	ds_read_u16 v15, v15
	ds_read_u16 v16, v16 offset:8
	v_add_u32_e32 v17, 1, v14
	s_waitcnt lgkmcnt(0)
	v_cmp_gt_u16_e32 vcc, v16, v15
	v_cndmask_b32_e32 v12, v12, v14, vcc
	v_cndmask_b32_e32 v9, v17, v9, vcc
	v_cmp_ge_i32_e32 vcc, v9, v12
	s_or_b64 s[2:3], vcc, s[2:3]
	s_andn2_b64 exec, exec, s[2:3]
	s_cbranch_execnz .LBB18_10
; %bb.11:
	s_or_b64 exec, exec, s[2:3]
.LBB18_12:
	s_or_b64 exec, exec, s[0:1]
	v_add_u32_e32 v12, 8, v10
	v_add_u32_e32 v13, v9, v10
	v_add_u32_e32 v10, v10, v7
	v_sub_u32_e32 v10, v10, v9
	v_lshl_add_u32 v11, v9, 1, v11
	v_lshlrev_b32_e32 v10, 1, v10
	ds_read_u16 v11, v11
	ds_read_u16 v10, v10 offset:8
	v_add_u32_e32 v7, v8, v7
	v_sub_u32_e32 v7, v7, v9
	v_cmp_lt_i32_e64 s[0:1], 3, v9
	v_cmp_gt_i32_e32 vcc, v12, v7
	s_waitcnt lgkmcnt(0)
	v_cmp_gt_u16_e64 s[2:3], v10, v11
	s_or_b64 s[0:1], s[0:1], s[2:3]
	s_and_b64 vcc, vcc, s[0:1]
	v_cndmask_b32_e32 v7, v13, v7, vcc
	v_cndmask_b32_e32 v8, v11, v10, vcc
	s_barrier
	ds_write_b8 v0, v6
	s_waitcnt lgkmcnt(0)
	s_barrier
	ds_read_u8 v6, v7
	v_and_b32_e32 v10, 0x3f0, v0
	s_waitcnt lgkmcnt(0)
	s_barrier
	ds_write_b16 v5, v8
	v_or_b32_e32 v8, 8, v10
	v_and_b32_e32 v7, 15, v0
	v_sub_u32_e32 v12, v8, v10
	v_sub_u32_e64 v9, v7, 8 clamp
	v_min_i32_e32 v12, v7, v12
	v_lshlrev_b32_e32 v11, 1, v10
	v_cmp_lt_i32_e32 vcc, v9, v12
	s_waitcnt lgkmcnt(0)
	s_barrier
	s_and_saveexec_b64 s[0:1], vcc
	s_cbranch_execz .LBB18_16
; %bb.13:
	v_lshl_add_u32 v13, v7, 1, v11
	s_mov_b64 s[2:3], 0
.LBB18_14:                              ; =>This Inner Loop Header: Depth=1
	v_sub_u32_e32 v14, v12, v9
	v_lshrrev_b32_e32 v14, 1, v14
	v_add_u32_e32 v14, v14, v9
	v_not_b32_e32 v16, v14
	v_lshl_add_u32 v15, v14, 1, v11
	v_lshl_add_u32 v16, v16, 1, v13
	ds_read_u16 v15, v15
	ds_read_u16 v16, v16 offset:16
	v_add_u32_e32 v17, 1, v14
	s_waitcnt lgkmcnt(0)
	v_cmp_gt_u16_e32 vcc, v16, v15
	v_cndmask_b32_e32 v12, v12, v14, vcc
	v_cndmask_b32_e32 v9, v17, v9, vcc
	v_cmp_ge_i32_e32 vcc, v9, v12
	s_or_b64 s[2:3], vcc, s[2:3]
	s_andn2_b64 exec, exec, s[2:3]
	s_cbranch_execnz .LBB18_14
; %bb.15:
	s_or_b64 exec, exec, s[2:3]
.LBB18_16:
	;; [unrolled: 63-line block ×5, first 2 shown]
	s_or_b64 exec, exec, s[0:1]
	v_add_u32_e32 v12, 0x80, v10
	v_add_u32_e32 v13, v9, v10
	;; [unrolled: 1-line block ×3, first 2 shown]
	v_sub_u32_e32 v10, v10, v9
	v_lshl_add_u32 v11, v9, 1, v11
	v_lshlrev_b32_e32 v10, 1, v10
	ds_read_u16 v11, v11
	ds_read_u16 v10, v10 offset:128
	v_add_u32_e32 v7, v8, v7
	v_sub_u32_e32 v7, v7, v9
	v_cmp_lt_i32_e64 s[0:1], 63, v9
	v_cmp_gt_i32_e32 vcc, v12, v7
	s_waitcnt lgkmcnt(0)
	v_cmp_gt_u16_e64 s[2:3], v10, v11
	s_or_b64 s[0:1], s[0:1], s[2:3]
	s_and_b64 vcc, vcc, s[0:1]
	v_cndmask_b32_e32 v8, v11, v10, vcc
	v_cndmask_b32_e32 v7, v13, v7, vcc
	s_barrier
	ds_write_b8 v0, v6
	s_waitcnt lgkmcnt(0)
	s_barrier
	ds_read_u8 v6, v7
	s_waitcnt lgkmcnt(0)
	s_barrier
	ds_write_b16 v5, v8
	v_and_b32_e32 v8, 0x300, v0
	v_or_b32_e32 v10, 0x80, v8
	s_movk_i32 s4, 0x80
	v_and_b32_e32 v9, 0xff, v0
	v_sub_u32_e32 v12, v10, v8
	v_sub_u32_e64 v7, v9, s4 clamp
	v_min_i32_e32 v12, v9, v12
	v_lshlrev_b32_e32 v11, 1, v8
	v_cmp_lt_i32_e32 vcc, v7, v12
	s_waitcnt lgkmcnt(0)
	s_barrier
	s_and_saveexec_b64 s[0:1], vcc
	s_cbranch_execz .LBB18_32
; %bb.29:
	v_lshl_add_u32 v13, v9, 1, v11
	s_mov_b64 s[2:3], 0
.LBB18_30:                              ; =>This Inner Loop Header: Depth=1
	v_sub_u32_e32 v14, v12, v7
	v_lshrrev_b32_e32 v14, 1, v14
	v_add_u32_e32 v14, v14, v7
	v_not_b32_e32 v16, v14
	v_lshl_add_u32 v15, v14, 1, v11
	v_lshl_add_u32 v16, v16, 1, v13
	ds_read_u16 v15, v15
	ds_read_u16 v16, v16 offset:256
	v_add_u32_e32 v17, 1, v14
	s_waitcnt lgkmcnt(0)
	v_cmp_gt_u16_e32 vcc, v16, v15
	v_cndmask_b32_e32 v12, v12, v14, vcc
	v_cndmask_b32_e32 v7, v17, v7, vcc
	v_cmp_ge_i32_e32 vcc, v7, v12
	s_or_b64 s[2:3], vcc, s[2:3]
	s_andn2_b64 exec, exec, s[2:3]
	s_cbranch_execnz .LBB18_30
; %bb.31:
	s_or_b64 exec, exec, s[2:3]
.LBB18_32:
	s_or_b64 exec, exec, s[0:1]
	v_add_u32_e32 v12, 0x100, v8
	v_add_u32_e32 v13, v7, v8
	;; [unrolled: 1-line block ×3, first 2 shown]
	v_sub_u32_e32 v8, v8, v7
	v_lshl_add_u32 v11, v7, 1, v11
	v_lshlrev_b32_e32 v8, 1, v8
	v_add_u32_e32 v10, v10, v9
	ds_read_u16 v9, v11
	ds_read_u16 v8, v8 offset:256
	s_movk_i32 s0, 0x7f
	v_sub_u32_e32 v10, v10, v7
	v_cmp_lt_i32_e64 s[0:1], s0, v7
	v_cmp_gt_i32_e32 vcc, v12, v10
	s_waitcnt lgkmcnt(0)
	v_cmp_gt_u16_e64 s[2:3], v8, v9
	s_or_b64 s[0:1], s[0:1], s[2:3]
	s_and_b64 vcc, vcc, s[0:1]
	v_cndmask_b32_e32 v7, v9, v8, vcc
	v_cndmask_b32_e32 v8, v13, v10, vcc
	s_barrier
	ds_write_b8 v0, v6
	s_waitcnt lgkmcnt(0)
	s_barrier
	ds_read_u8 v6, v8
	v_and_b32_e32 v8, 0x200, v0
	v_or_b32_e32 v10, 0x100, v8
	s_movk_i32 s4, 0x100
	v_and_b32_e32 v9, 0x1ff, v0
	v_sub_u32_e32 v12, v10, v8
	s_waitcnt lgkmcnt(0)
	s_barrier
	ds_write_b16 v5, v7
	v_sub_u32_e64 v7, v9, s4 clamp
	v_min_i32_e32 v12, v9, v12
	v_lshlrev_b32_e32 v11, 1, v8
	v_cmp_lt_i32_e32 vcc, v7, v12
	s_waitcnt lgkmcnt(0)
	s_barrier
	s_and_saveexec_b64 s[0:1], vcc
	s_cbranch_execz .LBB18_36
; %bb.33:
	v_lshl_add_u32 v13, v9, 1, v11
	s_mov_b64 s[2:3], 0
.LBB18_34:                              ; =>This Inner Loop Header: Depth=1
	v_sub_u32_e32 v14, v12, v7
	v_lshrrev_b32_e32 v14, 1, v14
	v_add_u32_e32 v14, v14, v7
	v_not_b32_e32 v16, v14
	v_lshl_add_u32 v15, v14, 1, v11
	v_lshl_add_u32 v16, v16, 1, v13
	ds_read_u16 v15, v15
	ds_read_u16 v16, v16 offset:512
	v_add_u32_e32 v17, 1, v14
	s_waitcnt lgkmcnt(0)
	v_cmp_gt_u16_e32 vcc, v16, v15
	v_cndmask_b32_e32 v12, v12, v14, vcc
	v_cndmask_b32_e32 v7, v17, v7, vcc
	v_cmp_ge_i32_e32 vcc, v7, v12
	s_or_b64 s[2:3], vcc, s[2:3]
	s_andn2_b64 exec, exec, s[2:3]
	s_cbranch_execnz .LBB18_34
; %bb.35:
	s_or_b64 exec, exec, s[2:3]
.LBB18_36:
	s_or_b64 exec, exec, s[0:1]
	v_add_u32_e32 v12, 0x200, v8
	v_add_u32_e32 v13, v7, v8
	;; [unrolled: 1-line block ×3, first 2 shown]
	v_sub_u32_e32 v8, v8, v7
	v_lshl_add_u32 v11, v7, 1, v11
	v_lshlrev_b32_e32 v8, 1, v8
	v_add_u32_e32 v10, v10, v9
	ds_read_u16 v9, v11
	ds_read_u16 v8, v8 offset:512
	s_movk_i32 s0, 0xff
	v_sub_u32_e32 v10, v10, v7
	v_cmp_lt_i32_e64 s[0:1], s0, v7
	v_cmp_gt_i32_e32 vcc, v12, v10
	s_waitcnt lgkmcnt(0)
	v_cmp_gt_u16_e64 s[2:3], v8, v9
	s_or_b64 s[0:1], s[0:1], s[2:3]
	s_and_b64 vcc, vcc, s[0:1]
	v_cndmask_b32_e32 v7, v9, v8, vcc
	v_cndmask_b32_e32 v8, v13, v10, vcc
	s_barrier
	ds_write_b8 v0, v6
	s_waitcnt lgkmcnt(0)
	s_barrier
	ds_read_u8 v6, v8
	s_movk_i32 s4, 0x200
	s_waitcnt lgkmcnt(0)
	s_barrier
	ds_write_b16 v5, v7
	v_sub_u32_e64 v7, v0, s4 clamp
	v_min_u32_e32 v8, 0x200, v0
	v_cmp_lt_u32_e32 vcc, v7, v8
	s_waitcnt lgkmcnt(0)
	s_barrier
	s_and_saveexec_b64 s[0:1], vcc
	s_cbranch_execz .LBB18_40
; %bb.37:
	s_mov_b64 s[2:3], 0
.LBB18_38:                              ; =>This Inner Loop Header: Depth=1
	v_sub_u32_e32 v9, v8, v7
	v_lshrrev_b32_e32 v9, 1, v9
	v_add_u32_e32 v9, v9, v7
	v_not_b32_e32 v11, v9
	v_lshlrev_b32_e32 v10, 1, v9
	v_lshl_add_u32 v11, v11, 1, v5
	ds_read_u16 v10, v10
	ds_read_u16 v11, v11 offset:1024
	v_add_u32_e32 v12, 1, v9
	s_waitcnt lgkmcnt(0)
	v_cmp_gt_u16_e32 vcc, v11, v10
	v_cndmask_b32_e32 v8, v8, v9, vcc
	v_cndmask_b32_e32 v7, v12, v7, vcc
	v_cmp_ge_i32_e32 vcc, v7, v8
	s_or_b64 s[2:3], vcc, s[2:3]
	s_andn2_b64 exec, exec, s[2:3]
	s_cbranch_execnz .LBB18_38
; %bb.39:
	s_or_b64 exec, exec, s[2:3]
.LBB18_40:
	s_or_b64 exec, exec, s[0:1]
	v_sub_u32_e32 v5, v0, v7
	v_add_u32_e32 v8, 0x200, v5
	v_lshlrev_b32_e32 v9, 1, v7
	v_lshlrev_b32_e32 v5, 1, v5
	ds_read_u16 v9, v9
	ds_read_u16 v5, v5 offset:1024
	s_movk_i32 s0, 0x400
	v_cmp_gt_i32_e32 vcc, s0, v8
	s_movk_i32 s0, 0x1ff
	v_cmp_lt_i32_e64 s[0:1], s0, v7
	s_waitcnt lgkmcnt(0)
	v_cmp_gt_u16_e64 s[2:3], v5, v9
	s_or_b64 s[0:1], s[0:1], s[2:3]
	s_and_b64 vcc, vcc, s[0:1]
	v_cndmask_b32_e32 v7, v7, v8, vcc
	s_barrier
	ds_write_b8 v0, v6
	s_waitcnt lgkmcnt(0)
	s_barrier
	ds_read_u8 v0, v7
	v_cndmask_b32_e32 v5, v9, v5, vcc
	global_store_short v[1:2], v5, off
	s_waitcnt lgkmcnt(0)
	global_store_byte v[3:4], v0, off
	s_endpgm
	.section	.rodata,"a",@progbits
	.p2align	6, 0x0
	.amdhsa_kernel _Z21sort_key_value_kernelILj1024ELj1EtcN10test_utils7greaterEEvPT1_PT2_T3_
		.amdhsa_group_segment_fixed_size 2050
		.amdhsa_private_segment_fixed_size 0
		.amdhsa_kernarg_size 20
		.amdhsa_user_sgpr_count 6
		.amdhsa_user_sgpr_private_segment_buffer 1
		.amdhsa_user_sgpr_dispatch_ptr 0
		.amdhsa_user_sgpr_queue_ptr 0
		.amdhsa_user_sgpr_kernarg_segment_ptr 1
		.amdhsa_user_sgpr_dispatch_id 0
		.amdhsa_user_sgpr_flat_scratch_init 0
		.amdhsa_user_sgpr_private_segment_size 0
		.amdhsa_uses_dynamic_stack 0
		.amdhsa_system_sgpr_private_segment_wavefront_offset 0
		.amdhsa_system_sgpr_workgroup_id_x 1
		.amdhsa_system_sgpr_workgroup_id_y 0
		.amdhsa_system_sgpr_workgroup_id_z 0
		.amdhsa_system_sgpr_workgroup_info 0
		.amdhsa_system_vgpr_workitem_id 0
		.amdhsa_next_free_vgpr 29
		.amdhsa_next_free_sgpr 61
		.amdhsa_reserve_vcc 1
		.amdhsa_reserve_flat_scratch 0
		.amdhsa_float_round_mode_32 0
		.amdhsa_float_round_mode_16_64 0
		.amdhsa_float_denorm_mode_32 3
		.amdhsa_float_denorm_mode_16_64 3
		.amdhsa_dx10_clamp 1
		.amdhsa_ieee_mode 1
		.amdhsa_fp16_overflow 0
		.amdhsa_exception_fp_ieee_invalid_op 0
		.amdhsa_exception_fp_denorm_src 0
		.amdhsa_exception_fp_ieee_div_zero 0
		.amdhsa_exception_fp_ieee_overflow 0
		.amdhsa_exception_fp_ieee_underflow 0
		.amdhsa_exception_fp_ieee_inexact 0
		.amdhsa_exception_int_div_zero 0
	.end_amdhsa_kernel
	.section	.text._Z21sort_key_value_kernelILj1024ELj1EtcN10test_utils7greaterEEvPT1_PT2_T3_,"axG",@progbits,_Z21sort_key_value_kernelILj1024ELj1EtcN10test_utils7greaterEEvPT1_PT2_T3_,comdat
.Lfunc_end18:
	.size	_Z21sort_key_value_kernelILj1024ELj1EtcN10test_utils7greaterEEvPT1_PT2_T3_, .Lfunc_end18-_Z21sort_key_value_kernelILj1024ELj1EtcN10test_utils7greaterEEvPT1_PT2_T3_
                                        ; -- End function
	.set _Z21sort_key_value_kernelILj1024ELj1EtcN10test_utils7greaterEEvPT1_PT2_T3_.num_vgpr, 18
	.set _Z21sort_key_value_kernelILj1024ELj1EtcN10test_utils7greaterEEvPT1_PT2_T3_.num_agpr, 0
	.set _Z21sort_key_value_kernelILj1024ELj1EtcN10test_utils7greaterEEvPT1_PT2_T3_.numbered_sgpr, 8
	.set _Z21sort_key_value_kernelILj1024ELj1EtcN10test_utils7greaterEEvPT1_PT2_T3_.num_named_barrier, 0
	.set _Z21sort_key_value_kernelILj1024ELj1EtcN10test_utils7greaterEEvPT1_PT2_T3_.private_seg_size, 0
	.set _Z21sort_key_value_kernelILj1024ELj1EtcN10test_utils7greaterEEvPT1_PT2_T3_.uses_vcc, 1
	.set _Z21sort_key_value_kernelILj1024ELj1EtcN10test_utils7greaterEEvPT1_PT2_T3_.uses_flat_scratch, 0
	.set _Z21sort_key_value_kernelILj1024ELj1EtcN10test_utils7greaterEEvPT1_PT2_T3_.has_dyn_sized_stack, 0
	.set _Z21sort_key_value_kernelILj1024ELj1EtcN10test_utils7greaterEEvPT1_PT2_T3_.has_recursion, 0
	.set _Z21sort_key_value_kernelILj1024ELj1EtcN10test_utils7greaterEEvPT1_PT2_T3_.has_indirect_call, 0
	.section	.AMDGPU.csdata,"",@progbits
; Kernel info:
; codeLenInByte = 3076
; TotalNumSgprs: 12
; NumVgprs: 18
; ScratchSize: 0
; MemoryBound: 0
; FloatMode: 240
; IeeeMode: 1
; LDSByteSize: 2050 bytes/workgroup (compile time only)
; SGPRBlocks: 8
; VGPRBlocks: 7
; NumSGPRsForWavesPerEU: 65
; NumVGPRsForWavesPerEU: 29
; Occupancy: 8
; WaveLimiterHint : 0
; COMPUTE_PGM_RSRC2:SCRATCH_EN: 0
; COMPUTE_PGM_RSRC2:USER_SGPR: 6
; COMPUTE_PGM_RSRC2:TRAP_HANDLER: 0
; COMPUTE_PGM_RSRC2:TGID_X_EN: 1
; COMPUTE_PGM_RSRC2:TGID_Y_EN: 0
; COMPUTE_PGM_RSRC2:TGID_Z_EN: 0
; COMPUTE_PGM_RSRC2:TIDIG_COMP_CNT: 0
	.section	.text._Z21sort_key_value_kernelILj256ELj1EjiN10test_utils4lessEEvPT1_PT2_T3_,"axG",@progbits,_Z21sort_key_value_kernelILj256ELj1EjiN10test_utils4lessEEvPT1_PT2_T3_,comdat
	.protected	_Z21sort_key_value_kernelILj256ELj1EjiN10test_utils4lessEEvPT1_PT2_T3_ ; -- Begin function _Z21sort_key_value_kernelILj256ELj1EjiN10test_utils4lessEEvPT1_PT2_T3_
	.globl	_Z21sort_key_value_kernelILj256ELj1EjiN10test_utils4lessEEvPT1_PT2_T3_
	.p2align	8
	.type	_Z21sort_key_value_kernelILj256ELj1EjiN10test_utils4lessEEvPT1_PT2_T3_,@function
_Z21sort_key_value_kernelILj256ELj1EjiN10test_utils4lessEEvPT1_PT2_T3_: ; @_Z21sort_key_value_kernelILj256ELj1EjiN10test_utils4lessEEvPT1_PT2_T3_
; %bb.0:
	s_load_dwordx4 s[0:3], s[4:5], 0x0
	s_lshl_b32 s4, s6, 8
	s_mov_b32 s5, 0
	s_lshl_b64 s[4:5], s[4:5], 2
	v_lshlrev_b32_e32 v5, 2, v0
	s_waitcnt lgkmcnt(0)
	s_add_u32 s0, s0, s4
	s_addc_u32 s1, s1, s5
	global_load_dword v12, v5, s[0:1]
	s_add_u32 s2, s2, s4
	s_addc_u32 s3, s3, s5
	global_load_dword v6, v5, s[2:3]
	v_and_b32_e32 v9, 1, v0
	v_add_u32_e32 v1, -1, v9
	v_cmp_lt_i32_e32 vcc, 0, v9
	v_and_b32_e32 v7, 0xfe, v0
	v_cndmask_b32_e32 v10, 0, v1, vcc
	v_mov_b32_e32 v2, s1
	v_add_co_u32_e32 v1, vcc, s0, v5
	v_or_b32_e32 v8, 1, v7
	v_addc_co_u32_e32 v2, vcc, 0, v2, vcc
	v_sub_u32_e32 v13, v8, v7
	v_mov_b32_e32 v4, s3
	v_add_co_u32_e32 v3, vcc, s2, v5
	s_waitcnt vmcnt(0)
	s_barrier
	v_addc_co_u32_e32 v4, vcc, 0, v4, vcc
	v_lshlrev_b32_e32 v11, 2, v7
	ds_write_b32 v5, v12
	v_min_i32_e32 v12, v9, v13
	v_cmp_lt_i32_e32 vcc, v10, v12
	s_waitcnt lgkmcnt(0)
	s_barrier
	s_and_saveexec_b64 s[0:1], vcc
	s_cbranch_execz .LBB19_4
; %bb.1:
	v_lshlrev_b32_e32 v13, 2, v9
	v_lshl_add_u32 v13, v8, 2, v13
	s_mov_b64 s[2:3], 0
.LBB19_2:                               ; =>This Inner Loop Header: Depth=1
	v_sub_u32_e32 v14, v12, v10
	v_lshrrev_b32_e32 v14, 1, v14
	v_add_u32_e32 v14, v14, v10
	v_not_b32_e32 v16, v14
	v_lshl_add_u32 v15, v14, 2, v11
	v_lshl_add_u32 v16, v16, 2, v13
	ds_read_b32 v15, v15
	ds_read_b32 v16, v16
	v_add_u32_e32 v17, 1, v14
	s_waitcnt lgkmcnt(0)
	v_cmp_lt_u32_e32 vcc, v16, v15
	v_cndmask_b32_e32 v12, v12, v14, vcc
	v_cndmask_b32_e32 v10, v17, v10, vcc
	v_cmp_ge_i32_e32 vcc, v10, v12
	s_or_b64 s[2:3], vcc, s[2:3]
	s_andn2_b64 exec, exec, s[2:3]
	s_cbranch_execnz .LBB19_2
; %bb.3:
	s_or_b64 exec, exec, s[2:3]
.LBB19_4:
	s_or_b64 exec, exec, s[0:1]
	v_add_u32_e32 v9, v8, v9
	v_sub_u32_e32 v9, v9, v10
	v_lshl_add_u32 v11, v10, 2, v11
	v_lshlrev_b32_e32 v12, 2, v9
	ds_read_b32 v11, v11
	ds_read_b32 v12, v12
	v_add_u32_e32 v7, v10, v7
	v_cmp_le_i32_e64 s[0:1], v8, v7
	v_cmp_ge_i32_e32 vcc, v8, v9
	s_waitcnt lgkmcnt(0)
	v_cmp_lt_u32_e64 s[2:3], v12, v11
	s_or_b64 s[0:1], s[0:1], s[2:3]
	s_and_b64 vcc, vcc, s[0:1]
	v_cndmask_b32_e32 v7, v7, v9, vcc
	v_cndmask_b32_e32 v8, v11, v12, vcc
	s_barrier
	ds_write_b32 v5, v6
	v_lshlrev_b32_e32 v6, 2, v7
	v_and_b32_e32 v7, 0xfc, v0
	s_waitcnt lgkmcnt(0)
	s_barrier
	ds_read_b32 v6, v6
	s_waitcnt lgkmcnt(0)
	s_barrier
	ds_write_b32 v5, v8
	v_or_b32_e32 v8, 2, v7
	v_add_u32_e32 v9, 4, v7
	v_and_b32_e32 v10, 3, v0
	v_sub_u32_e32 v11, v9, v8
	v_sub_u32_e32 v13, v8, v7
	;; [unrolled: 1-line block ×3, first 2 shown]
	v_cmp_ge_i32_e32 vcc, v10, v11
	v_cndmask_b32_e32 v11, 0, v14, vcc
	v_min_i32_e32 v13, v10, v13
	v_lshlrev_b32_e32 v12, 2, v7
	v_cmp_lt_i32_e32 vcc, v11, v13
	s_waitcnt lgkmcnt(0)
	s_barrier
	s_and_saveexec_b64 s[0:1], vcc
	s_cbranch_execz .LBB19_8
; %bb.5:
	v_lshlrev_b32_e32 v14, 2, v10
	v_lshl_add_u32 v14, v8, 2, v14
	s_mov_b64 s[2:3], 0
.LBB19_6:                               ; =>This Inner Loop Header: Depth=1
	v_sub_u32_e32 v15, v13, v11
	v_lshrrev_b32_e32 v15, 1, v15
	v_add_u32_e32 v15, v15, v11
	v_not_b32_e32 v17, v15
	v_lshl_add_u32 v16, v15, 2, v12
	v_lshl_add_u32 v17, v17, 2, v14
	ds_read_b32 v16, v16
	ds_read_b32 v17, v17
	v_add_u32_e32 v18, 1, v15
	s_waitcnt lgkmcnt(0)
	v_cmp_lt_u32_e32 vcc, v17, v16
	v_cndmask_b32_e32 v13, v13, v15, vcc
	v_cndmask_b32_e32 v11, v18, v11, vcc
	v_cmp_ge_i32_e32 vcc, v11, v13
	s_or_b64 s[2:3], vcc, s[2:3]
	s_andn2_b64 exec, exec, s[2:3]
	s_cbranch_execnz .LBB19_6
; %bb.7:
	s_or_b64 exec, exec, s[2:3]
.LBB19_8:
	s_or_b64 exec, exec, s[0:1]
	v_add_u32_e32 v10, v8, v10
	v_sub_u32_e32 v10, v10, v11
	v_lshl_add_u32 v12, v11, 2, v12
	v_lshlrev_b32_e32 v13, 2, v10
	ds_read_b32 v12, v12
	ds_read_b32 v13, v13
	v_add_u32_e32 v7, v11, v7
	v_cmp_le_i32_e64 s[0:1], v8, v7
	v_cmp_gt_i32_e32 vcc, v9, v10
	s_waitcnt lgkmcnt(0)
	v_cmp_lt_u32_e64 s[2:3], v13, v12
	s_or_b64 s[0:1], s[0:1], s[2:3]
	s_and_b64 vcc, vcc, s[0:1]
	v_cndmask_b32_e32 v7, v7, v10, vcc
	v_cndmask_b32_e32 v8, v12, v13, vcc
	s_barrier
	ds_write_b32 v5, v6
	v_lshlrev_b32_e32 v6, 2, v7
	v_and_b32_e32 v7, 0xf8, v0
	s_waitcnt lgkmcnt(0)
	s_barrier
	ds_read_b32 v6, v6
	s_waitcnt lgkmcnt(0)
	s_barrier
	ds_write_b32 v5, v8
	v_or_b32_e32 v8, 4, v7
	v_add_u32_e32 v9, 8, v7
	v_and_b32_e32 v10, 7, v0
	v_sub_u32_e32 v11, v9, v8
	v_sub_u32_e32 v13, v8, v7
	;; [unrolled: 1-line block ×3, first 2 shown]
	v_cmp_ge_i32_e32 vcc, v10, v11
	v_cndmask_b32_e32 v11, 0, v14, vcc
	v_min_i32_e32 v13, v10, v13
	v_lshlrev_b32_e32 v12, 2, v7
	v_cmp_lt_i32_e32 vcc, v11, v13
	s_waitcnt lgkmcnt(0)
	s_barrier
	s_and_saveexec_b64 s[0:1], vcc
	s_cbranch_execz .LBB19_12
; %bb.9:
	v_lshlrev_b32_e32 v14, 2, v10
	v_lshl_add_u32 v14, v8, 2, v14
	s_mov_b64 s[2:3], 0
.LBB19_10:                              ; =>This Inner Loop Header: Depth=1
	v_sub_u32_e32 v15, v13, v11
	v_lshrrev_b32_e32 v15, 1, v15
	v_add_u32_e32 v15, v15, v11
	v_not_b32_e32 v17, v15
	v_lshl_add_u32 v16, v15, 2, v12
	v_lshl_add_u32 v17, v17, 2, v14
	ds_read_b32 v16, v16
	ds_read_b32 v17, v17
	v_add_u32_e32 v18, 1, v15
	s_waitcnt lgkmcnt(0)
	v_cmp_lt_u32_e32 vcc, v17, v16
	v_cndmask_b32_e32 v13, v13, v15, vcc
	v_cndmask_b32_e32 v11, v18, v11, vcc
	v_cmp_ge_i32_e32 vcc, v11, v13
	s_or_b64 s[2:3], vcc, s[2:3]
	s_andn2_b64 exec, exec, s[2:3]
	s_cbranch_execnz .LBB19_10
; %bb.11:
	s_or_b64 exec, exec, s[2:3]
.LBB19_12:
	s_or_b64 exec, exec, s[0:1]
	v_add_u32_e32 v10, v8, v10
	v_sub_u32_e32 v10, v10, v11
	v_lshl_add_u32 v12, v11, 2, v12
	v_lshlrev_b32_e32 v13, 2, v10
	ds_read_b32 v12, v12
	ds_read_b32 v13, v13
	v_add_u32_e32 v7, v11, v7
	v_cmp_le_i32_e64 s[0:1], v8, v7
	v_cmp_gt_i32_e32 vcc, v9, v10
	s_waitcnt lgkmcnt(0)
	v_cmp_lt_u32_e64 s[2:3], v13, v12
	s_or_b64 s[0:1], s[0:1], s[2:3]
	s_and_b64 vcc, vcc, s[0:1]
	v_cndmask_b32_e32 v7, v7, v10, vcc
	v_cndmask_b32_e32 v8, v12, v13, vcc
	s_barrier
	ds_write_b32 v5, v6
	v_lshlrev_b32_e32 v6, 2, v7
	v_and_b32_e32 v7, 0xf0, v0
	s_waitcnt lgkmcnt(0)
	s_barrier
	ds_read_b32 v6, v6
	s_waitcnt lgkmcnt(0)
	s_barrier
	ds_write_b32 v5, v8
	v_or_b32_e32 v8, 8, v7
	v_add_u32_e32 v9, 16, v7
	v_and_b32_e32 v10, 15, v0
	v_sub_u32_e32 v11, v9, v8
	v_sub_u32_e32 v13, v8, v7
	;; [unrolled: 1-line block ×3, first 2 shown]
	v_cmp_ge_i32_e32 vcc, v10, v11
	v_cndmask_b32_e32 v11, 0, v14, vcc
	v_min_i32_e32 v13, v10, v13
	v_lshlrev_b32_e32 v12, 2, v7
	v_cmp_lt_i32_e32 vcc, v11, v13
	s_waitcnt lgkmcnt(0)
	s_barrier
	s_and_saveexec_b64 s[0:1], vcc
	s_cbranch_execz .LBB19_16
; %bb.13:
	v_lshlrev_b32_e32 v14, 2, v10
	v_lshl_add_u32 v14, v8, 2, v14
	s_mov_b64 s[2:3], 0
.LBB19_14:                              ; =>This Inner Loop Header: Depth=1
	v_sub_u32_e32 v15, v13, v11
	v_lshrrev_b32_e32 v15, 1, v15
	v_add_u32_e32 v15, v15, v11
	v_not_b32_e32 v17, v15
	v_lshl_add_u32 v16, v15, 2, v12
	v_lshl_add_u32 v17, v17, 2, v14
	ds_read_b32 v16, v16
	ds_read_b32 v17, v17
	v_add_u32_e32 v18, 1, v15
	s_waitcnt lgkmcnt(0)
	v_cmp_lt_u32_e32 vcc, v17, v16
	v_cndmask_b32_e32 v13, v13, v15, vcc
	v_cndmask_b32_e32 v11, v18, v11, vcc
	v_cmp_ge_i32_e32 vcc, v11, v13
	s_or_b64 s[2:3], vcc, s[2:3]
	s_andn2_b64 exec, exec, s[2:3]
	s_cbranch_execnz .LBB19_14
; %bb.15:
	s_or_b64 exec, exec, s[2:3]
.LBB19_16:
	s_or_b64 exec, exec, s[0:1]
	v_add_u32_e32 v10, v8, v10
	v_sub_u32_e32 v10, v10, v11
	v_lshl_add_u32 v12, v11, 2, v12
	v_lshlrev_b32_e32 v13, 2, v10
	ds_read_b32 v12, v12
	ds_read_b32 v13, v13
	v_add_u32_e32 v7, v11, v7
	v_cmp_le_i32_e64 s[0:1], v8, v7
	v_cmp_gt_i32_e32 vcc, v9, v10
	s_waitcnt lgkmcnt(0)
	v_cmp_lt_u32_e64 s[2:3], v13, v12
	s_or_b64 s[0:1], s[0:1], s[2:3]
	s_and_b64 vcc, vcc, s[0:1]
	v_cndmask_b32_e32 v7, v7, v10, vcc
	v_cndmask_b32_e32 v8, v12, v13, vcc
	s_barrier
	ds_write_b32 v5, v6
	v_lshlrev_b32_e32 v6, 2, v7
	v_and_b32_e32 v7, 0xe0, v0
	s_waitcnt lgkmcnt(0)
	s_barrier
	ds_read_b32 v6, v6
	s_waitcnt lgkmcnt(0)
	s_barrier
	ds_write_b32 v5, v8
	v_or_b32_e32 v8, 16, v7
	v_add_u32_e32 v9, 32, v7
	v_and_b32_e32 v10, 31, v0
	v_sub_u32_e32 v11, v9, v8
	v_sub_u32_e32 v13, v8, v7
	;; [unrolled: 1-line block ×3, first 2 shown]
	v_cmp_ge_i32_e32 vcc, v10, v11
	v_cndmask_b32_e32 v11, 0, v14, vcc
	v_min_i32_e32 v13, v10, v13
	v_lshlrev_b32_e32 v12, 2, v7
	v_cmp_lt_i32_e32 vcc, v11, v13
	s_waitcnt lgkmcnt(0)
	s_barrier
	s_and_saveexec_b64 s[0:1], vcc
	s_cbranch_execz .LBB19_20
; %bb.17:
	v_lshlrev_b32_e32 v14, 2, v10
	v_lshl_add_u32 v14, v8, 2, v14
	s_mov_b64 s[2:3], 0
.LBB19_18:                              ; =>This Inner Loop Header: Depth=1
	v_sub_u32_e32 v15, v13, v11
	v_lshrrev_b32_e32 v15, 1, v15
	v_add_u32_e32 v15, v15, v11
	v_not_b32_e32 v17, v15
	v_lshl_add_u32 v16, v15, 2, v12
	v_lshl_add_u32 v17, v17, 2, v14
	ds_read_b32 v16, v16
	ds_read_b32 v17, v17
	v_add_u32_e32 v18, 1, v15
	s_waitcnt lgkmcnt(0)
	v_cmp_lt_u32_e32 vcc, v17, v16
	v_cndmask_b32_e32 v13, v13, v15, vcc
	v_cndmask_b32_e32 v11, v18, v11, vcc
	v_cmp_ge_i32_e32 vcc, v11, v13
	s_or_b64 s[2:3], vcc, s[2:3]
	s_andn2_b64 exec, exec, s[2:3]
	s_cbranch_execnz .LBB19_18
; %bb.19:
	s_or_b64 exec, exec, s[2:3]
.LBB19_20:
	s_or_b64 exec, exec, s[0:1]
	v_add_u32_e32 v10, v8, v10
	v_sub_u32_e32 v10, v10, v11
	v_lshl_add_u32 v12, v11, 2, v12
	v_lshlrev_b32_e32 v13, 2, v10
	ds_read_b32 v12, v12
	ds_read_b32 v13, v13
	v_add_u32_e32 v7, v11, v7
	v_cmp_le_i32_e64 s[0:1], v8, v7
	v_cmp_gt_i32_e32 vcc, v9, v10
	s_waitcnt lgkmcnt(0)
	v_cmp_lt_u32_e64 s[2:3], v13, v12
	s_or_b64 s[0:1], s[0:1], s[2:3]
	s_and_b64 vcc, vcc, s[0:1]
	v_cndmask_b32_e32 v7, v7, v10, vcc
	v_cndmask_b32_e32 v8, v12, v13, vcc
	s_barrier
	ds_write_b32 v5, v6
	v_lshlrev_b32_e32 v6, 2, v7
	v_and_b32_e32 v7, 0xc0, v0
	s_waitcnt lgkmcnt(0)
	s_barrier
	ds_read_b32 v6, v6
	s_waitcnt lgkmcnt(0)
	s_barrier
	ds_write_b32 v5, v8
	v_or_b32_e32 v8, 32, v7
	v_add_u32_e32 v9, 64, v7
	v_and_b32_e32 v10, 63, v0
	v_sub_u32_e32 v11, v9, v8
	v_sub_u32_e32 v13, v8, v7
	;; [unrolled: 1-line block ×3, first 2 shown]
	v_cmp_ge_i32_e32 vcc, v10, v11
	v_cndmask_b32_e32 v11, 0, v14, vcc
	v_min_i32_e32 v13, v10, v13
	v_lshlrev_b32_e32 v12, 2, v7
	v_cmp_lt_i32_e32 vcc, v11, v13
	s_waitcnt lgkmcnt(0)
	s_barrier
	s_and_saveexec_b64 s[0:1], vcc
	s_cbranch_execz .LBB19_24
; %bb.21:
	v_lshlrev_b32_e32 v14, 2, v10
	v_lshl_add_u32 v14, v8, 2, v14
	s_mov_b64 s[2:3], 0
.LBB19_22:                              ; =>This Inner Loop Header: Depth=1
	v_sub_u32_e32 v15, v13, v11
	v_lshrrev_b32_e32 v15, 1, v15
	v_add_u32_e32 v15, v15, v11
	v_not_b32_e32 v17, v15
	v_lshl_add_u32 v16, v15, 2, v12
	v_lshl_add_u32 v17, v17, 2, v14
	ds_read_b32 v16, v16
	ds_read_b32 v17, v17
	v_add_u32_e32 v18, 1, v15
	s_waitcnt lgkmcnt(0)
	v_cmp_lt_u32_e32 vcc, v17, v16
	v_cndmask_b32_e32 v13, v13, v15, vcc
	v_cndmask_b32_e32 v11, v18, v11, vcc
	v_cmp_ge_i32_e32 vcc, v11, v13
	s_or_b64 s[2:3], vcc, s[2:3]
	s_andn2_b64 exec, exec, s[2:3]
	s_cbranch_execnz .LBB19_22
; %bb.23:
	s_or_b64 exec, exec, s[2:3]
.LBB19_24:
	s_or_b64 exec, exec, s[0:1]
	v_add_u32_e32 v10, v8, v10
	v_sub_u32_e32 v10, v10, v11
	v_lshl_add_u32 v12, v11, 2, v12
	v_lshlrev_b32_e32 v13, 2, v10
	ds_read_b32 v12, v12
	ds_read_b32 v13, v13
	v_add_u32_e32 v7, v11, v7
	v_cmp_le_i32_e64 s[0:1], v8, v7
	v_cmp_gt_i32_e32 vcc, v9, v10
	s_waitcnt lgkmcnt(0)
	v_cmp_lt_u32_e64 s[2:3], v13, v12
	s_or_b64 s[0:1], s[0:1], s[2:3]
	s_and_b64 vcc, vcc, s[0:1]
	v_cndmask_b32_e32 v7, v7, v10, vcc
	v_cndmask_b32_e32 v8, v12, v13, vcc
	s_barrier
	ds_write_b32 v5, v6
	v_lshlrev_b32_e32 v6, 2, v7
	v_and_b32_e32 v7, 0x80, v0
	s_waitcnt lgkmcnt(0)
	s_barrier
	ds_read_b32 v6, v6
	s_waitcnt lgkmcnt(0)
	s_barrier
	ds_write_b32 v5, v8
	v_or_b32_e32 v8, 64, v7
	v_add_u32_e32 v9, 0x80, v7
	v_and_b32_e32 v10, 0x7f, v0
	v_sub_u32_e32 v11, v9, v8
	v_sub_u32_e32 v13, v8, v7
	;; [unrolled: 1-line block ×3, first 2 shown]
	v_cmp_ge_i32_e32 vcc, v10, v11
	v_cndmask_b32_e32 v11, 0, v14, vcc
	v_min_i32_e32 v13, v10, v13
	v_lshlrev_b32_e32 v12, 2, v7
	v_cmp_lt_i32_e32 vcc, v11, v13
	s_waitcnt lgkmcnt(0)
	s_barrier
	s_and_saveexec_b64 s[0:1], vcc
	s_cbranch_execz .LBB19_28
; %bb.25:
	v_lshlrev_b32_e32 v14, 2, v10
	v_lshl_add_u32 v14, v8, 2, v14
	s_mov_b64 s[2:3], 0
.LBB19_26:                              ; =>This Inner Loop Header: Depth=1
	v_sub_u32_e32 v15, v13, v11
	v_lshrrev_b32_e32 v15, 1, v15
	v_add_u32_e32 v15, v15, v11
	v_not_b32_e32 v17, v15
	v_lshl_add_u32 v16, v15, 2, v12
	v_lshl_add_u32 v17, v17, 2, v14
	ds_read_b32 v16, v16
	ds_read_b32 v17, v17
	v_add_u32_e32 v18, 1, v15
	s_waitcnt lgkmcnt(0)
	v_cmp_lt_u32_e32 vcc, v17, v16
	v_cndmask_b32_e32 v13, v13, v15, vcc
	v_cndmask_b32_e32 v11, v18, v11, vcc
	v_cmp_ge_i32_e32 vcc, v11, v13
	s_or_b64 s[2:3], vcc, s[2:3]
	s_andn2_b64 exec, exec, s[2:3]
	s_cbranch_execnz .LBB19_26
; %bb.27:
	s_or_b64 exec, exec, s[2:3]
.LBB19_28:
	s_or_b64 exec, exec, s[0:1]
	v_add_u32_e32 v10, v8, v10
	v_sub_u32_e32 v10, v10, v11
	v_lshl_add_u32 v12, v11, 2, v12
	v_lshlrev_b32_e32 v13, 2, v10
	ds_read_b32 v12, v12
	ds_read_b32 v13, v13
	v_add_u32_e32 v7, v11, v7
	v_cmp_le_i32_e64 s[0:1], v8, v7
	v_cmp_gt_i32_e32 vcc, v9, v10
	s_waitcnt lgkmcnt(0)
	v_cmp_lt_u32_e64 s[2:3], v13, v12
	s_or_b64 s[0:1], s[0:1], s[2:3]
	s_and_b64 vcc, vcc, s[0:1]
	v_cndmask_b32_e32 v7, v7, v10, vcc
	s_barrier
	ds_write_b32 v5, v6
	v_lshlrev_b32_e32 v6, 2, v7
	s_waitcnt lgkmcnt(0)
	s_barrier
	ds_read_b32 v6, v6
	v_cndmask_b32_e32 v8, v12, v13, vcc
	s_waitcnt lgkmcnt(0)
	s_barrier
	ds_write_b32 v5, v8
	v_mov_b32_e32 v8, 0x80
	v_sub_u32_e64 v7, v0, v8 clamp
	v_min_i32_e32 v9, 0x80, v0
	v_cmp_lt_i32_e32 vcc, v7, v9
	s_waitcnt lgkmcnt(0)
	s_barrier
	s_and_saveexec_b64 s[0:1], vcc
	s_cbranch_execz .LBB19_32
; %bb.29:
	v_lshl_add_u32 v10, v8, 2, v5
	s_mov_b64 s[2:3], 0
.LBB19_30:                              ; =>This Inner Loop Header: Depth=1
	v_sub_u32_e32 v11, v9, v7
	v_lshrrev_b32_e32 v11, 1, v11
	v_add_u32_e32 v11, v11, v7
	v_not_b32_e32 v13, v11
	v_lshlrev_b32_e32 v12, 2, v11
	v_lshl_add_u32 v13, v13, 2, v10
	ds_read_b32 v12, v12
	ds_read_b32 v13, v13
	v_add_u32_e32 v14, 1, v11
	s_waitcnt lgkmcnt(0)
	v_cmp_lt_u32_e32 vcc, v13, v12
	v_cndmask_b32_e32 v9, v9, v11, vcc
	v_cndmask_b32_e32 v7, v14, v7, vcc
	v_cmp_ge_i32_e32 vcc, v7, v9
	s_or_b64 s[2:3], vcc, s[2:3]
	s_andn2_b64 exec, exec, s[2:3]
	s_cbranch_execnz .LBB19_30
; %bb.31:
	s_or_b64 exec, exec, s[2:3]
.LBB19_32:
	s_or_b64 exec, exec, s[0:1]
	v_add_u32_e32 v0, 0x80, v0
	v_sub_u32_e32 v0, v0, v7
	v_lshlrev_b32_e32 v9, 2, v7
	v_lshlrev_b32_e32 v10, 2, v0
	ds_read_b32 v9, v9
	ds_read_b32 v10, v10
	s_movk_i32 s0, 0x100
	v_cmp_gt_i32_e32 vcc, s0, v0
	v_cmp_le_i32_e64 s[0:1], v8, v7
	s_waitcnt lgkmcnt(0)
	v_cmp_lt_u32_e64 s[2:3], v10, v9
	s_or_b64 s[0:1], s[0:1], s[2:3]
	s_and_b64 vcc, vcc, s[0:1]
	v_cndmask_b32_e32 v0, v7, v0, vcc
	v_lshlrev_b32_e32 v0, 2, v0
	s_barrier
	ds_write_b32 v5, v6
	s_waitcnt lgkmcnt(0)
	s_barrier
	ds_read_b32 v0, v0
	v_cndmask_b32_e32 v8, v9, v10, vcc
	global_store_dword v[1:2], v8, off
	s_waitcnt lgkmcnt(0)
	global_store_dword v[3:4], v0, off
	s_endpgm
	.section	.rodata,"a",@progbits
	.p2align	6, 0x0
	.amdhsa_kernel _Z21sort_key_value_kernelILj256ELj1EjiN10test_utils4lessEEvPT1_PT2_T3_
		.amdhsa_group_segment_fixed_size 1028
		.amdhsa_private_segment_fixed_size 0
		.amdhsa_kernarg_size 20
		.amdhsa_user_sgpr_count 6
		.amdhsa_user_sgpr_private_segment_buffer 1
		.amdhsa_user_sgpr_dispatch_ptr 0
		.amdhsa_user_sgpr_queue_ptr 0
		.amdhsa_user_sgpr_kernarg_segment_ptr 1
		.amdhsa_user_sgpr_dispatch_id 0
		.amdhsa_user_sgpr_flat_scratch_init 0
		.amdhsa_user_sgpr_private_segment_size 0
		.amdhsa_uses_dynamic_stack 0
		.amdhsa_system_sgpr_private_segment_wavefront_offset 0
		.amdhsa_system_sgpr_workgroup_id_x 1
		.amdhsa_system_sgpr_workgroup_id_y 0
		.amdhsa_system_sgpr_workgroup_id_z 0
		.amdhsa_system_sgpr_workgroup_info 0
		.amdhsa_system_vgpr_workitem_id 0
		.amdhsa_next_free_vgpr 19
		.amdhsa_next_free_sgpr 7
		.amdhsa_reserve_vcc 1
		.amdhsa_reserve_flat_scratch 0
		.amdhsa_float_round_mode_32 0
		.amdhsa_float_round_mode_16_64 0
		.amdhsa_float_denorm_mode_32 3
		.amdhsa_float_denorm_mode_16_64 3
		.amdhsa_dx10_clamp 1
		.amdhsa_ieee_mode 1
		.amdhsa_fp16_overflow 0
		.amdhsa_exception_fp_ieee_invalid_op 0
		.amdhsa_exception_fp_denorm_src 0
		.amdhsa_exception_fp_ieee_div_zero 0
		.amdhsa_exception_fp_ieee_overflow 0
		.amdhsa_exception_fp_ieee_underflow 0
		.amdhsa_exception_fp_ieee_inexact 0
		.amdhsa_exception_int_div_zero 0
	.end_amdhsa_kernel
	.section	.text._Z21sort_key_value_kernelILj256ELj1EjiN10test_utils4lessEEvPT1_PT2_T3_,"axG",@progbits,_Z21sort_key_value_kernelILj256ELj1EjiN10test_utils4lessEEvPT1_PT2_T3_,comdat
.Lfunc_end19:
	.size	_Z21sort_key_value_kernelILj256ELj1EjiN10test_utils4lessEEvPT1_PT2_T3_, .Lfunc_end19-_Z21sort_key_value_kernelILj256ELj1EjiN10test_utils4lessEEvPT1_PT2_T3_
                                        ; -- End function
	.set _Z21sort_key_value_kernelILj256ELj1EjiN10test_utils4lessEEvPT1_PT2_T3_.num_vgpr, 19
	.set _Z21sort_key_value_kernelILj256ELj1EjiN10test_utils4lessEEvPT1_PT2_T3_.num_agpr, 0
	.set _Z21sort_key_value_kernelILj256ELj1EjiN10test_utils4lessEEvPT1_PT2_T3_.numbered_sgpr, 7
	.set _Z21sort_key_value_kernelILj256ELj1EjiN10test_utils4lessEEvPT1_PT2_T3_.num_named_barrier, 0
	.set _Z21sort_key_value_kernelILj256ELj1EjiN10test_utils4lessEEvPT1_PT2_T3_.private_seg_size, 0
	.set _Z21sort_key_value_kernelILj256ELj1EjiN10test_utils4lessEEvPT1_PT2_T3_.uses_vcc, 1
	.set _Z21sort_key_value_kernelILj256ELj1EjiN10test_utils4lessEEvPT1_PT2_T3_.uses_flat_scratch, 0
	.set _Z21sort_key_value_kernelILj256ELj1EjiN10test_utils4lessEEvPT1_PT2_T3_.has_dyn_sized_stack, 0
	.set _Z21sort_key_value_kernelILj256ELj1EjiN10test_utils4lessEEvPT1_PT2_T3_.has_recursion, 0
	.set _Z21sort_key_value_kernelILj256ELj1EjiN10test_utils4lessEEvPT1_PT2_T3_.has_indirect_call, 0
	.section	.AMDGPU.csdata,"",@progbits
; Kernel info:
; codeLenInByte = 2508
; TotalNumSgprs: 11
; NumVgprs: 19
; ScratchSize: 0
; MemoryBound: 0
; FloatMode: 240
; IeeeMode: 1
; LDSByteSize: 1028 bytes/workgroup (compile time only)
; SGPRBlocks: 1
; VGPRBlocks: 4
; NumSGPRsForWavesPerEU: 11
; NumVGPRsForWavesPerEU: 19
; Occupancy: 10
; WaveLimiterHint : 0
; COMPUTE_PGM_RSRC2:SCRATCH_EN: 0
; COMPUTE_PGM_RSRC2:USER_SGPR: 6
; COMPUTE_PGM_RSRC2:TRAP_HANDLER: 0
; COMPUTE_PGM_RSRC2:TGID_X_EN: 1
; COMPUTE_PGM_RSRC2:TGID_Y_EN: 0
; COMPUTE_PGM_RSRC2:TGID_Z_EN: 0
; COMPUTE_PGM_RSRC2:TIDIG_COMP_CNT: 0
	.section	.text._Z21sort_key_value_kernelILj128ELj1EiiN10test_utils4lessEEvPT1_PT2_T3_,"axG",@progbits,_Z21sort_key_value_kernelILj128ELj1EiiN10test_utils4lessEEvPT1_PT2_T3_,comdat
	.protected	_Z21sort_key_value_kernelILj128ELj1EiiN10test_utils4lessEEvPT1_PT2_T3_ ; -- Begin function _Z21sort_key_value_kernelILj128ELj1EiiN10test_utils4lessEEvPT1_PT2_T3_
	.globl	_Z21sort_key_value_kernelILj128ELj1EiiN10test_utils4lessEEvPT1_PT2_T3_
	.p2align	8
	.type	_Z21sort_key_value_kernelILj128ELj1EiiN10test_utils4lessEEvPT1_PT2_T3_,@function
_Z21sort_key_value_kernelILj128ELj1EiiN10test_utils4lessEEvPT1_PT2_T3_: ; @_Z21sort_key_value_kernelILj128ELj1EiiN10test_utils4lessEEvPT1_PT2_T3_
; %bb.0:
	s_load_dwordx4 s[0:3], s[4:5], 0x0
	s_lshl_b32 s4, s6, 7
	s_mov_b32 s5, 0
	s_lshl_b64 s[4:5], s[4:5], 2
	v_lshlrev_b32_e32 v5, 2, v0
	s_waitcnt lgkmcnt(0)
	s_add_u32 s0, s0, s4
	s_addc_u32 s1, s1, s5
	global_load_dword v12, v5, s[0:1]
	s_add_u32 s2, s2, s4
	s_addc_u32 s3, s3, s5
	global_load_dword v6, v5, s[2:3]
	v_and_b32_e32 v9, 1, v0
	v_add_u32_e32 v1, -1, v9
	v_cmp_lt_i32_e32 vcc, 0, v9
	v_and_b32_e32 v7, 0x7e, v0
	v_cndmask_b32_e32 v10, 0, v1, vcc
	v_mov_b32_e32 v2, s1
	v_add_co_u32_e32 v1, vcc, s0, v5
	v_or_b32_e32 v8, 1, v7
	v_addc_co_u32_e32 v2, vcc, 0, v2, vcc
	v_sub_u32_e32 v13, v8, v7
	v_mov_b32_e32 v4, s3
	v_add_co_u32_e32 v3, vcc, s2, v5
	s_waitcnt vmcnt(0)
	s_barrier
	v_addc_co_u32_e32 v4, vcc, 0, v4, vcc
	v_lshlrev_b32_e32 v11, 2, v7
	ds_write_b32 v5, v12
	v_min_i32_e32 v12, v9, v13
	v_cmp_lt_i32_e32 vcc, v10, v12
	s_waitcnt lgkmcnt(0)
	s_barrier
	s_and_saveexec_b64 s[0:1], vcc
	s_cbranch_execz .LBB20_4
; %bb.1:
	v_lshlrev_b32_e32 v13, 2, v9
	v_lshl_add_u32 v13, v8, 2, v13
	s_mov_b64 s[2:3], 0
.LBB20_2:                               ; =>This Inner Loop Header: Depth=1
	v_sub_u32_e32 v14, v12, v10
	v_lshrrev_b32_e32 v14, 1, v14
	v_add_u32_e32 v14, v14, v10
	v_not_b32_e32 v16, v14
	v_lshl_add_u32 v15, v14, 2, v11
	v_lshl_add_u32 v16, v16, 2, v13
	ds_read_b32 v15, v15
	ds_read_b32 v16, v16
	v_add_u32_e32 v17, 1, v14
	s_waitcnt lgkmcnt(0)
	v_cmp_lt_i32_e32 vcc, v16, v15
	v_cndmask_b32_e32 v12, v12, v14, vcc
	v_cndmask_b32_e32 v10, v17, v10, vcc
	v_cmp_ge_i32_e32 vcc, v10, v12
	s_or_b64 s[2:3], vcc, s[2:3]
	s_andn2_b64 exec, exec, s[2:3]
	s_cbranch_execnz .LBB20_2
; %bb.3:
	s_or_b64 exec, exec, s[2:3]
.LBB20_4:
	s_or_b64 exec, exec, s[0:1]
	v_add_u32_e32 v9, v8, v9
	v_sub_u32_e32 v9, v9, v10
	v_lshl_add_u32 v11, v10, 2, v11
	v_lshlrev_b32_e32 v12, 2, v9
	ds_read_b32 v11, v11
	ds_read_b32 v12, v12
	v_add_u32_e32 v7, v10, v7
	v_cmp_le_i32_e64 s[0:1], v8, v7
	v_cmp_ge_i32_e32 vcc, v8, v9
	s_waitcnt lgkmcnt(0)
	v_cmp_lt_i32_e64 s[2:3], v12, v11
	s_or_b64 s[0:1], s[0:1], s[2:3]
	s_and_b64 vcc, vcc, s[0:1]
	v_cndmask_b32_e32 v7, v7, v9, vcc
	v_cndmask_b32_e32 v8, v11, v12, vcc
	s_barrier
	ds_write_b32 v5, v6
	v_lshlrev_b32_e32 v6, 2, v7
	v_and_b32_e32 v7, 0x7c, v0
	s_waitcnt lgkmcnt(0)
	s_barrier
	ds_read_b32 v6, v6
	s_waitcnt lgkmcnt(0)
	s_barrier
	ds_write_b32 v5, v8
	v_or_b32_e32 v8, 2, v7
	v_add_u32_e32 v9, 4, v7
	v_and_b32_e32 v10, 3, v0
	v_sub_u32_e32 v11, v9, v8
	v_sub_u32_e32 v13, v8, v7
	v_sub_u32_e32 v14, v10, v11
	v_cmp_ge_i32_e32 vcc, v10, v11
	v_cndmask_b32_e32 v11, 0, v14, vcc
	v_min_i32_e32 v13, v10, v13
	v_lshlrev_b32_e32 v12, 2, v7
	v_cmp_lt_i32_e32 vcc, v11, v13
	s_waitcnt lgkmcnt(0)
	s_barrier
	s_and_saveexec_b64 s[0:1], vcc
	s_cbranch_execz .LBB20_8
; %bb.5:
	v_lshlrev_b32_e32 v14, 2, v10
	v_lshl_add_u32 v14, v8, 2, v14
	s_mov_b64 s[2:3], 0
.LBB20_6:                               ; =>This Inner Loop Header: Depth=1
	v_sub_u32_e32 v15, v13, v11
	v_lshrrev_b32_e32 v15, 1, v15
	v_add_u32_e32 v15, v15, v11
	v_not_b32_e32 v17, v15
	v_lshl_add_u32 v16, v15, 2, v12
	v_lshl_add_u32 v17, v17, 2, v14
	ds_read_b32 v16, v16
	ds_read_b32 v17, v17
	v_add_u32_e32 v18, 1, v15
	s_waitcnt lgkmcnt(0)
	v_cmp_lt_i32_e32 vcc, v17, v16
	v_cndmask_b32_e32 v13, v13, v15, vcc
	v_cndmask_b32_e32 v11, v18, v11, vcc
	v_cmp_ge_i32_e32 vcc, v11, v13
	s_or_b64 s[2:3], vcc, s[2:3]
	s_andn2_b64 exec, exec, s[2:3]
	s_cbranch_execnz .LBB20_6
; %bb.7:
	s_or_b64 exec, exec, s[2:3]
.LBB20_8:
	s_or_b64 exec, exec, s[0:1]
	v_add_u32_e32 v10, v8, v10
	v_sub_u32_e32 v10, v10, v11
	v_lshl_add_u32 v12, v11, 2, v12
	v_lshlrev_b32_e32 v13, 2, v10
	ds_read_b32 v12, v12
	ds_read_b32 v13, v13
	v_add_u32_e32 v7, v11, v7
	v_cmp_le_i32_e64 s[0:1], v8, v7
	v_cmp_gt_i32_e32 vcc, v9, v10
	s_waitcnt lgkmcnt(0)
	v_cmp_lt_i32_e64 s[2:3], v13, v12
	s_or_b64 s[0:1], s[0:1], s[2:3]
	s_and_b64 vcc, vcc, s[0:1]
	v_cndmask_b32_e32 v7, v7, v10, vcc
	v_cndmask_b32_e32 v8, v12, v13, vcc
	s_barrier
	ds_write_b32 v5, v6
	v_lshlrev_b32_e32 v6, 2, v7
	v_and_b32_e32 v7, 0x78, v0
	s_waitcnt lgkmcnt(0)
	s_barrier
	ds_read_b32 v6, v6
	s_waitcnt lgkmcnt(0)
	s_barrier
	ds_write_b32 v5, v8
	v_or_b32_e32 v8, 4, v7
	v_add_u32_e32 v9, 8, v7
	v_and_b32_e32 v10, 7, v0
	v_sub_u32_e32 v11, v9, v8
	v_sub_u32_e32 v13, v8, v7
	;; [unrolled: 1-line block ×3, first 2 shown]
	v_cmp_ge_i32_e32 vcc, v10, v11
	v_cndmask_b32_e32 v11, 0, v14, vcc
	v_min_i32_e32 v13, v10, v13
	v_lshlrev_b32_e32 v12, 2, v7
	v_cmp_lt_i32_e32 vcc, v11, v13
	s_waitcnt lgkmcnt(0)
	s_barrier
	s_and_saveexec_b64 s[0:1], vcc
	s_cbranch_execz .LBB20_12
; %bb.9:
	v_lshlrev_b32_e32 v14, 2, v10
	v_lshl_add_u32 v14, v8, 2, v14
	s_mov_b64 s[2:3], 0
.LBB20_10:                              ; =>This Inner Loop Header: Depth=1
	v_sub_u32_e32 v15, v13, v11
	v_lshrrev_b32_e32 v15, 1, v15
	v_add_u32_e32 v15, v15, v11
	v_not_b32_e32 v17, v15
	v_lshl_add_u32 v16, v15, 2, v12
	v_lshl_add_u32 v17, v17, 2, v14
	ds_read_b32 v16, v16
	ds_read_b32 v17, v17
	v_add_u32_e32 v18, 1, v15
	s_waitcnt lgkmcnt(0)
	v_cmp_lt_i32_e32 vcc, v17, v16
	v_cndmask_b32_e32 v13, v13, v15, vcc
	v_cndmask_b32_e32 v11, v18, v11, vcc
	v_cmp_ge_i32_e32 vcc, v11, v13
	s_or_b64 s[2:3], vcc, s[2:3]
	s_andn2_b64 exec, exec, s[2:3]
	s_cbranch_execnz .LBB20_10
; %bb.11:
	s_or_b64 exec, exec, s[2:3]
.LBB20_12:
	s_or_b64 exec, exec, s[0:1]
	v_add_u32_e32 v10, v8, v10
	v_sub_u32_e32 v10, v10, v11
	v_lshl_add_u32 v12, v11, 2, v12
	v_lshlrev_b32_e32 v13, 2, v10
	ds_read_b32 v12, v12
	ds_read_b32 v13, v13
	v_add_u32_e32 v7, v11, v7
	v_cmp_le_i32_e64 s[0:1], v8, v7
	v_cmp_gt_i32_e32 vcc, v9, v10
	s_waitcnt lgkmcnt(0)
	v_cmp_lt_i32_e64 s[2:3], v13, v12
	s_or_b64 s[0:1], s[0:1], s[2:3]
	s_and_b64 vcc, vcc, s[0:1]
	v_cndmask_b32_e32 v7, v7, v10, vcc
	v_cndmask_b32_e32 v8, v12, v13, vcc
	s_barrier
	ds_write_b32 v5, v6
	v_lshlrev_b32_e32 v6, 2, v7
	v_and_b32_e32 v7, 0x70, v0
	s_waitcnt lgkmcnt(0)
	s_barrier
	ds_read_b32 v6, v6
	s_waitcnt lgkmcnt(0)
	s_barrier
	ds_write_b32 v5, v8
	v_or_b32_e32 v8, 8, v7
	v_add_u32_e32 v9, 16, v7
	v_and_b32_e32 v10, 15, v0
	v_sub_u32_e32 v11, v9, v8
	v_sub_u32_e32 v13, v8, v7
	;; [unrolled: 1-line block ×3, first 2 shown]
	v_cmp_ge_i32_e32 vcc, v10, v11
	v_cndmask_b32_e32 v11, 0, v14, vcc
	v_min_i32_e32 v13, v10, v13
	v_lshlrev_b32_e32 v12, 2, v7
	v_cmp_lt_i32_e32 vcc, v11, v13
	s_waitcnt lgkmcnt(0)
	s_barrier
	s_and_saveexec_b64 s[0:1], vcc
	s_cbranch_execz .LBB20_16
; %bb.13:
	v_lshlrev_b32_e32 v14, 2, v10
	v_lshl_add_u32 v14, v8, 2, v14
	s_mov_b64 s[2:3], 0
.LBB20_14:                              ; =>This Inner Loop Header: Depth=1
	v_sub_u32_e32 v15, v13, v11
	v_lshrrev_b32_e32 v15, 1, v15
	v_add_u32_e32 v15, v15, v11
	v_not_b32_e32 v17, v15
	v_lshl_add_u32 v16, v15, 2, v12
	v_lshl_add_u32 v17, v17, 2, v14
	ds_read_b32 v16, v16
	ds_read_b32 v17, v17
	v_add_u32_e32 v18, 1, v15
	s_waitcnt lgkmcnt(0)
	v_cmp_lt_i32_e32 vcc, v17, v16
	v_cndmask_b32_e32 v13, v13, v15, vcc
	v_cndmask_b32_e32 v11, v18, v11, vcc
	v_cmp_ge_i32_e32 vcc, v11, v13
	s_or_b64 s[2:3], vcc, s[2:3]
	s_andn2_b64 exec, exec, s[2:3]
	s_cbranch_execnz .LBB20_14
; %bb.15:
	s_or_b64 exec, exec, s[2:3]
.LBB20_16:
	s_or_b64 exec, exec, s[0:1]
	v_add_u32_e32 v10, v8, v10
	v_sub_u32_e32 v10, v10, v11
	v_lshl_add_u32 v12, v11, 2, v12
	v_lshlrev_b32_e32 v13, 2, v10
	ds_read_b32 v12, v12
	ds_read_b32 v13, v13
	v_add_u32_e32 v7, v11, v7
	v_cmp_le_i32_e64 s[0:1], v8, v7
	v_cmp_gt_i32_e32 vcc, v9, v10
	s_waitcnt lgkmcnt(0)
	v_cmp_lt_i32_e64 s[2:3], v13, v12
	s_or_b64 s[0:1], s[0:1], s[2:3]
	s_and_b64 vcc, vcc, s[0:1]
	v_cndmask_b32_e32 v7, v7, v10, vcc
	v_cndmask_b32_e32 v8, v12, v13, vcc
	s_barrier
	ds_write_b32 v5, v6
	v_lshlrev_b32_e32 v6, 2, v7
	v_and_b32_e32 v7, 0x60, v0
	s_waitcnt lgkmcnt(0)
	s_barrier
	ds_read_b32 v6, v6
	s_waitcnt lgkmcnt(0)
	s_barrier
	ds_write_b32 v5, v8
	v_or_b32_e32 v8, 16, v7
	v_add_u32_e32 v9, 32, v7
	v_and_b32_e32 v10, 31, v0
	v_sub_u32_e32 v11, v9, v8
	v_sub_u32_e32 v13, v8, v7
	;; [unrolled: 1-line block ×3, first 2 shown]
	v_cmp_ge_i32_e32 vcc, v10, v11
	v_cndmask_b32_e32 v11, 0, v14, vcc
	v_min_i32_e32 v13, v10, v13
	v_lshlrev_b32_e32 v12, 2, v7
	v_cmp_lt_i32_e32 vcc, v11, v13
	s_waitcnt lgkmcnt(0)
	s_barrier
	s_and_saveexec_b64 s[0:1], vcc
	s_cbranch_execz .LBB20_20
; %bb.17:
	v_lshlrev_b32_e32 v14, 2, v10
	v_lshl_add_u32 v14, v8, 2, v14
	s_mov_b64 s[2:3], 0
.LBB20_18:                              ; =>This Inner Loop Header: Depth=1
	v_sub_u32_e32 v15, v13, v11
	v_lshrrev_b32_e32 v15, 1, v15
	v_add_u32_e32 v15, v15, v11
	v_not_b32_e32 v17, v15
	v_lshl_add_u32 v16, v15, 2, v12
	v_lshl_add_u32 v17, v17, 2, v14
	ds_read_b32 v16, v16
	ds_read_b32 v17, v17
	v_add_u32_e32 v18, 1, v15
	s_waitcnt lgkmcnt(0)
	v_cmp_lt_i32_e32 vcc, v17, v16
	v_cndmask_b32_e32 v13, v13, v15, vcc
	v_cndmask_b32_e32 v11, v18, v11, vcc
	v_cmp_ge_i32_e32 vcc, v11, v13
	s_or_b64 s[2:3], vcc, s[2:3]
	s_andn2_b64 exec, exec, s[2:3]
	s_cbranch_execnz .LBB20_18
; %bb.19:
	s_or_b64 exec, exec, s[2:3]
.LBB20_20:
	s_or_b64 exec, exec, s[0:1]
	v_add_u32_e32 v10, v8, v10
	v_sub_u32_e32 v10, v10, v11
	v_lshl_add_u32 v12, v11, 2, v12
	v_lshlrev_b32_e32 v13, 2, v10
	ds_read_b32 v12, v12
	ds_read_b32 v13, v13
	v_add_u32_e32 v7, v11, v7
	v_cmp_le_i32_e64 s[0:1], v8, v7
	v_cmp_gt_i32_e32 vcc, v9, v10
	s_waitcnt lgkmcnt(0)
	v_cmp_lt_i32_e64 s[2:3], v13, v12
	s_or_b64 s[0:1], s[0:1], s[2:3]
	s_and_b64 vcc, vcc, s[0:1]
	v_cndmask_b32_e32 v7, v7, v10, vcc
	v_cndmask_b32_e32 v8, v12, v13, vcc
	s_barrier
	ds_write_b32 v5, v6
	v_lshlrev_b32_e32 v6, 2, v7
	v_and_b32_e32 v7, 64, v0
	s_waitcnt lgkmcnt(0)
	s_barrier
	ds_read_b32 v6, v6
	s_waitcnt lgkmcnt(0)
	s_barrier
	ds_write_b32 v5, v8
	v_or_b32_e32 v8, 32, v7
	v_add_u32_e32 v9, 64, v7
	v_and_b32_e32 v10, 63, v0
	v_sub_u32_e32 v11, v9, v8
	v_sub_u32_e32 v13, v8, v7
	;; [unrolled: 1-line block ×3, first 2 shown]
	v_cmp_ge_i32_e32 vcc, v10, v11
	v_cndmask_b32_e32 v11, 0, v14, vcc
	v_min_i32_e32 v13, v10, v13
	v_lshlrev_b32_e32 v12, 2, v7
	v_cmp_lt_i32_e32 vcc, v11, v13
	s_waitcnt lgkmcnt(0)
	s_barrier
	s_and_saveexec_b64 s[0:1], vcc
	s_cbranch_execz .LBB20_24
; %bb.21:
	v_lshlrev_b32_e32 v14, 2, v10
	v_lshl_add_u32 v14, v8, 2, v14
	s_mov_b64 s[2:3], 0
.LBB20_22:                              ; =>This Inner Loop Header: Depth=1
	v_sub_u32_e32 v15, v13, v11
	v_lshrrev_b32_e32 v15, 1, v15
	v_add_u32_e32 v15, v15, v11
	v_not_b32_e32 v17, v15
	v_lshl_add_u32 v16, v15, 2, v12
	v_lshl_add_u32 v17, v17, 2, v14
	ds_read_b32 v16, v16
	ds_read_b32 v17, v17
	v_add_u32_e32 v18, 1, v15
	s_waitcnt lgkmcnt(0)
	v_cmp_lt_i32_e32 vcc, v17, v16
	v_cndmask_b32_e32 v13, v13, v15, vcc
	v_cndmask_b32_e32 v11, v18, v11, vcc
	v_cmp_ge_i32_e32 vcc, v11, v13
	s_or_b64 s[2:3], vcc, s[2:3]
	s_andn2_b64 exec, exec, s[2:3]
	s_cbranch_execnz .LBB20_22
; %bb.23:
	s_or_b64 exec, exec, s[2:3]
.LBB20_24:
	s_or_b64 exec, exec, s[0:1]
	v_add_u32_e32 v10, v8, v10
	v_sub_u32_e32 v10, v10, v11
	v_lshl_add_u32 v12, v11, 2, v12
	v_lshlrev_b32_e32 v13, 2, v10
	ds_read_b32 v12, v12
	ds_read_b32 v13, v13
	v_add_u32_e32 v7, v11, v7
	v_cmp_le_i32_e64 s[0:1], v8, v7
	v_cmp_gt_i32_e32 vcc, v9, v10
	s_waitcnt lgkmcnt(0)
	v_cmp_lt_i32_e64 s[2:3], v13, v12
	s_or_b64 s[0:1], s[0:1], s[2:3]
	s_and_b64 vcc, vcc, s[0:1]
	v_cndmask_b32_e32 v7, v7, v10, vcc
	s_barrier
	ds_write_b32 v5, v6
	v_lshlrev_b32_e32 v6, 2, v7
	s_waitcnt lgkmcnt(0)
	s_barrier
	ds_read_b32 v6, v6
	v_cndmask_b32_e32 v8, v12, v13, vcc
	s_waitcnt lgkmcnt(0)
	s_barrier
	ds_write_b32 v5, v8
	v_sub_u32_e64 v7, v0, 64 clamp
	v_min_i32_e32 v8, 64, v0
	v_cmp_lt_i32_e32 vcc, v7, v8
	s_waitcnt lgkmcnt(0)
	s_barrier
	s_and_saveexec_b64 s[0:1], vcc
	s_cbranch_execz .LBB20_28
; %bb.25:
	v_lshl_add_u32 v9, 64, 2, v5
	s_mov_b64 s[2:3], 0
.LBB20_26:                              ; =>This Inner Loop Header: Depth=1
	v_sub_u32_e32 v10, v8, v7
	v_lshrrev_b32_e32 v10, 1, v10
	v_add_u32_e32 v10, v10, v7
	v_not_b32_e32 v12, v10
	v_lshlrev_b32_e32 v11, 2, v10
	v_lshl_add_u32 v12, v12, 2, v9
	ds_read_b32 v11, v11
	ds_read_b32 v12, v12
	v_add_u32_e32 v13, 1, v10
	s_waitcnt lgkmcnt(0)
	v_cmp_lt_i32_e32 vcc, v12, v11
	v_cndmask_b32_e32 v8, v8, v10, vcc
	v_cndmask_b32_e32 v7, v13, v7, vcc
	v_cmp_ge_i32_e32 vcc, v7, v8
	s_or_b64 s[2:3], vcc, s[2:3]
	s_andn2_b64 exec, exec, s[2:3]
	s_cbranch_execnz .LBB20_26
; %bb.27:
	s_or_b64 exec, exec, s[2:3]
.LBB20_28:
	s_or_b64 exec, exec, s[0:1]
	v_add_u32_e32 v0, 64, v0
	v_sub_u32_e32 v0, v0, v7
	v_lshlrev_b32_e32 v8, 2, v7
	v_lshlrev_b32_e32 v9, 2, v0
	ds_read_b32 v8, v8
	ds_read_b32 v9, v9
	s_movk_i32 s0, 0x80
	v_cmp_gt_i32_e32 vcc, s0, v0
	v_cmp_le_i32_e64 s[0:1], 64, v7
	s_waitcnt lgkmcnt(0)
	v_cmp_lt_i32_e64 s[2:3], v9, v8
	s_or_b64 s[0:1], s[0:1], s[2:3]
	s_and_b64 vcc, vcc, s[0:1]
	v_cndmask_b32_e32 v0, v7, v0, vcc
	v_lshlrev_b32_e32 v0, 2, v0
	s_barrier
	ds_write_b32 v5, v6
	s_waitcnt lgkmcnt(0)
	s_barrier
	ds_read_b32 v0, v0
	v_cndmask_b32_e32 v8, v8, v9, vcc
	global_store_dword v[1:2], v8, off
	s_waitcnt lgkmcnt(0)
	global_store_dword v[3:4], v0, off
	s_endpgm
	.section	.rodata,"a",@progbits
	.p2align	6, 0x0
	.amdhsa_kernel _Z21sort_key_value_kernelILj128ELj1EiiN10test_utils4lessEEvPT1_PT2_T3_
		.amdhsa_group_segment_fixed_size 516
		.amdhsa_private_segment_fixed_size 0
		.amdhsa_kernarg_size 20
		.amdhsa_user_sgpr_count 6
		.amdhsa_user_sgpr_private_segment_buffer 1
		.amdhsa_user_sgpr_dispatch_ptr 0
		.amdhsa_user_sgpr_queue_ptr 0
		.amdhsa_user_sgpr_kernarg_segment_ptr 1
		.amdhsa_user_sgpr_dispatch_id 0
		.amdhsa_user_sgpr_flat_scratch_init 0
		.amdhsa_user_sgpr_private_segment_size 0
		.amdhsa_uses_dynamic_stack 0
		.amdhsa_system_sgpr_private_segment_wavefront_offset 0
		.amdhsa_system_sgpr_workgroup_id_x 1
		.amdhsa_system_sgpr_workgroup_id_y 0
		.amdhsa_system_sgpr_workgroup_id_z 0
		.amdhsa_system_sgpr_workgroup_info 0
		.amdhsa_system_vgpr_workitem_id 0
		.amdhsa_next_free_vgpr 19
		.amdhsa_next_free_sgpr 7
		.amdhsa_reserve_vcc 1
		.amdhsa_reserve_flat_scratch 0
		.amdhsa_float_round_mode_32 0
		.amdhsa_float_round_mode_16_64 0
		.amdhsa_float_denorm_mode_32 3
		.amdhsa_float_denorm_mode_16_64 3
		.amdhsa_dx10_clamp 1
		.amdhsa_ieee_mode 1
		.amdhsa_fp16_overflow 0
		.amdhsa_exception_fp_ieee_invalid_op 0
		.amdhsa_exception_fp_denorm_src 0
		.amdhsa_exception_fp_ieee_div_zero 0
		.amdhsa_exception_fp_ieee_overflow 0
		.amdhsa_exception_fp_ieee_underflow 0
		.amdhsa_exception_fp_ieee_inexact 0
		.amdhsa_exception_int_div_zero 0
	.end_amdhsa_kernel
	.section	.text._Z21sort_key_value_kernelILj128ELj1EiiN10test_utils4lessEEvPT1_PT2_T3_,"axG",@progbits,_Z21sort_key_value_kernelILj128ELj1EiiN10test_utils4lessEEvPT1_PT2_T3_,comdat
.Lfunc_end20:
	.size	_Z21sort_key_value_kernelILj128ELj1EiiN10test_utils4lessEEvPT1_PT2_T3_, .Lfunc_end20-_Z21sort_key_value_kernelILj128ELj1EiiN10test_utils4lessEEvPT1_PT2_T3_
                                        ; -- End function
	.set _Z21sort_key_value_kernelILj128ELj1EiiN10test_utils4lessEEvPT1_PT2_T3_.num_vgpr, 19
	.set _Z21sort_key_value_kernelILj128ELj1EiiN10test_utils4lessEEvPT1_PT2_T3_.num_agpr, 0
	.set _Z21sort_key_value_kernelILj128ELj1EiiN10test_utils4lessEEvPT1_PT2_T3_.numbered_sgpr, 7
	.set _Z21sort_key_value_kernelILj128ELj1EiiN10test_utils4lessEEvPT1_PT2_T3_.num_named_barrier, 0
	.set _Z21sort_key_value_kernelILj128ELj1EiiN10test_utils4lessEEvPT1_PT2_T3_.private_seg_size, 0
	.set _Z21sort_key_value_kernelILj128ELj1EiiN10test_utils4lessEEvPT1_PT2_T3_.uses_vcc, 1
	.set _Z21sort_key_value_kernelILj128ELj1EiiN10test_utils4lessEEvPT1_PT2_T3_.uses_flat_scratch, 0
	.set _Z21sort_key_value_kernelILj128ELj1EiiN10test_utils4lessEEvPT1_PT2_T3_.has_dyn_sized_stack, 0
	.set _Z21sort_key_value_kernelILj128ELj1EiiN10test_utils4lessEEvPT1_PT2_T3_.has_recursion, 0
	.set _Z21sort_key_value_kernelILj128ELj1EiiN10test_utils4lessEEvPT1_PT2_T3_.has_indirect_call, 0
	.section	.AMDGPU.csdata,"",@progbits
; Kernel info:
; codeLenInByte = 2176
; TotalNumSgprs: 11
; NumVgprs: 19
; ScratchSize: 0
; MemoryBound: 0
; FloatMode: 240
; IeeeMode: 1
; LDSByteSize: 516 bytes/workgroup (compile time only)
; SGPRBlocks: 1
; VGPRBlocks: 4
; NumSGPRsForWavesPerEU: 11
; NumVGPRsForWavesPerEU: 19
; Occupancy: 10
; WaveLimiterHint : 0
; COMPUTE_PGM_RSRC2:SCRATCH_EN: 0
; COMPUTE_PGM_RSRC2:USER_SGPR: 6
; COMPUTE_PGM_RSRC2:TRAP_HANDLER: 0
; COMPUTE_PGM_RSRC2:TGID_X_EN: 1
; COMPUTE_PGM_RSRC2:TGID_Y_EN: 0
; COMPUTE_PGM_RSRC2:TGID_Z_EN: 0
; COMPUTE_PGM_RSRC2:TIDIG_COMP_CNT: 0
	.section	.text._Z21sort_key_value_kernelILj64ELj1EjiN10test_utils4lessEEvPT1_PT2_T3_,"axG",@progbits,_Z21sort_key_value_kernelILj64ELj1EjiN10test_utils4lessEEvPT1_PT2_T3_,comdat
	.protected	_Z21sort_key_value_kernelILj64ELj1EjiN10test_utils4lessEEvPT1_PT2_T3_ ; -- Begin function _Z21sort_key_value_kernelILj64ELj1EjiN10test_utils4lessEEvPT1_PT2_T3_
	.globl	_Z21sort_key_value_kernelILj64ELj1EjiN10test_utils4lessEEvPT1_PT2_T3_
	.p2align	8
	.type	_Z21sort_key_value_kernelILj64ELj1EjiN10test_utils4lessEEvPT1_PT2_T3_,@function
_Z21sort_key_value_kernelILj64ELj1EjiN10test_utils4lessEEvPT1_PT2_T3_: ; @_Z21sort_key_value_kernelILj64ELj1EjiN10test_utils4lessEEvPT1_PT2_T3_
; %bb.0:
	s_load_dwordx4 s[0:3], s[4:5], 0x0
	s_lshl_b32 s4, s6, 6
	s_mov_b32 s5, 0
	s_lshl_b64 s[4:5], s[4:5], 2
	v_lshlrev_b32_e32 v5, 2, v0
	s_waitcnt lgkmcnt(0)
	s_add_u32 s0, s0, s4
	s_addc_u32 s1, s1, s5
	global_load_dword v12, v5, s[0:1]
	s_add_u32 s2, s2, s4
	s_addc_u32 s3, s3, s5
	global_load_dword v6, v5, s[2:3]
	v_and_b32_e32 v9, 1, v0
	v_add_u32_e32 v1, -1, v9
	v_cmp_lt_i32_e32 vcc, 0, v9
	v_and_b32_e32 v7, 62, v0
	v_cndmask_b32_e32 v10, 0, v1, vcc
	v_mov_b32_e32 v2, s1
	v_add_co_u32_e32 v1, vcc, s0, v5
	v_or_b32_e32 v8, 1, v7
	v_addc_co_u32_e32 v2, vcc, 0, v2, vcc
	v_sub_u32_e32 v13, v8, v7
	v_mov_b32_e32 v4, s3
	v_add_co_u32_e32 v3, vcc, s2, v5
	; wave barrier
	v_addc_co_u32_e32 v4, vcc, 0, v4, vcc
	v_lshlrev_b32_e32 v11, 2, v7
	s_waitcnt vmcnt(1)
	ds_write_b32 v5, v12
	v_min_i32_e32 v12, v9, v13
	v_cmp_lt_i32_e32 vcc, v10, v12
	s_waitcnt lgkmcnt(0)
	; wave barrier
	s_and_saveexec_b64 s[0:1], vcc
	s_cbranch_execz .LBB21_4
; %bb.1:
	v_lshlrev_b32_e32 v13, 2, v9
	v_lshl_add_u32 v13, v8, 2, v13
	s_mov_b64 s[2:3], 0
.LBB21_2:                               ; =>This Inner Loop Header: Depth=1
	v_sub_u32_e32 v14, v12, v10
	v_lshrrev_b32_e32 v14, 1, v14
	v_add_u32_e32 v14, v14, v10
	v_not_b32_e32 v16, v14
	v_lshl_add_u32 v15, v14, 2, v11
	v_lshl_add_u32 v16, v16, 2, v13
	ds_read_b32 v15, v15
	ds_read_b32 v16, v16
	v_add_u32_e32 v17, 1, v14
	s_waitcnt lgkmcnt(0)
	v_cmp_lt_u32_e32 vcc, v16, v15
	v_cndmask_b32_e32 v12, v12, v14, vcc
	v_cndmask_b32_e32 v10, v17, v10, vcc
	v_cmp_ge_i32_e32 vcc, v10, v12
	s_or_b64 s[2:3], vcc, s[2:3]
	s_andn2_b64 exec, exec, s[2:3]
	s_cbranch_execnz .LBB21_2
; %bb.3:
	s_or_b64 exec, exec, s[2:3]
.LBB21_4:
	s_or_b64 exec, exec, s[0:1]
	v_add_u32_e32 v9, v8, v9
	v_sub_u32_e32 v9, v9, v10
	v_lshl_add_u32 v11, v10, 2, v11
	v_lshlrev_b32_e32 v12, 2, v9
	ds_read_b32 v11, v11
	ds_read_b32 v12, v12
	v_add_u32_e32 v7, v10, v7
	v_cmp_le_i32_e64 s[0:1], v8, v7
	v_cmp_ge_i32_e32 vcc, v8, v9
	s_waitcnt lgkmcnt(0)
	v_cmp_lt_u32_e64 s[2:3], v12, v11
	s_or_b64 s[0:1], s[0:1], s[2:3]
	s_and_b64 vcc, vcc, s[0:1]
	v_cndmask_b32_e32 v7, v7, v9, vcc
	v_cndmask_b32_e32 v8, v11, v12, vcc
	; wave barrier
	s_waitcnt vmcnt(0)
	ds_write_b32 v5, v6
	v_lshlrev_b32_e32 v6, 2, v7
	v_and_b32_e32 v7, 60, v0
	s_waitcnt lgkmcnt(0)
	; wave barrier
	ds_read_b32 v6, v6
	s_waitcnt lgkmcnt(0)
	; wave barrier
	ds_write_b32 v5, v8
	v_or_b32_e32 v8, 2, v7
	v_add_u32_e32 v9, 4, v7
	v_and_b32_e32 v10, 3, v0
	v_sub_u32_e32 v11, v9, v8
	v_sub_u32_e32 v13, v8, v7
	;; [unrolled: 1-line block ×3, first 2 shown]
	v_cmp_ge_i32_e32 vcc, v10, v11
	v_cndmask_b32_e32 v11, 0, v14, vcc
	v_min_i32_e32 v13, v10, v13
	v_lshlrev_b32_e32 v12, 2, v7
	v_cmp_lt_i32_e32 vcc, v11, v13
	s_waitcnt lgkmcnt(0)
	; wave barrier
	s_and_saveexec_b64 s[0:1], vcc
	s_cbranch_execz .LBB21_8
; %bb.5:
	v_lshlrev_b32_e32 v14, 2, v10
	v_lshl_add_u32 v14, v8, 2, v14
	s_mov_b64 s[2:3], 0
.LBB21_6:                               ; =>This Inner Loop Header: Depth=1
	v_sub_u32_e32 v15, v13, v11
	v_lshrrev_b32_e32 v15, 1, v15
	v_add_u32_e32 v15, v15, v11
	v_not_b32_e32 v17, v15
	v_lshl_add_u32 v16, v15, 2, v12
	v_lshl_add_u32 v17, v17, 2, v14
	ds_read_b32 v16, v16
	ds_read_b32 v17, v17
	v_add_u32_e32 v18, 1, v15
	s_waitcnt lgkmcnt(0)
	v_cmp_lt_u32_e32 vcc, v17, v16
	v_cndmask_b32_e32 v13, v13, v15, vcc
	v_cndmask_b32_e32 v11, v18, v11, vcc
	v_cmp_ge_i32_e32 vcc, v11, v13
	s_or_b64 s[2:3], vcc, s[2:3]
	s_andn2_b64 exec, exec, s[2:3]
	s_cbranch_execnz .LBB21_6
; %bb.7:
	s_or_b64 exec, exec, s[2:3]
.LBB21_8:
	s_or_b64 exec, exec, s[0:1]
	v_add_u32_e32 v10, v8, v10
	v_sub_u32_e32 v10, v10, v11
	v_lshl_add_u32 v12, v11, 2, v12
	v_lshlrev_b32_e32 v13, 2, v10
	ds_read_b32 v12, v12
	ds_read_b32 v13, v13
	v_add_u32_e32 v7, v11, v7
	v_cmp_le_i32_e64 s[0:1], v8, v7
	v_cmp_gt_i32_e32 vcc, v9, v10
	s_waitcnt lgkmcnt(0)
	v_cmp_lt_u32_e64 s[2:3], v13, v12
	s_or_b64 s[0:1], s[0:1], s[2:3]
	s_and_b64 vcc, vcc, s[0:1]
	v_cndmask_b32_e32 v7, v7, v10, vcc
	v_cndmask_b32_e32 v8, v12, v13, vcc
	; wave barrier
	ds_write_b32 v5, v6
	v_lshlrev_b32_e32 v6, 2, v7
	v_and_b32_e32 v7, 56, v0
	s_waitcnt lgkmcnt(0)
	; wave barrier
	ds_read_b32 v6, v6
	s_waitcnt lgkmcnt(0)
	; wave barrier
	ds_write_b32 v5, v8
	v_or_b32_e32 v8, 4, v7
	v_add_u32_e32 v9, 8, v7
	v_and_b32_e32 v10, 7, v0
	v_sub_u32_e32 v11, v9, v8
	v_sub_u32_e32 v13, v8, v7
	;; [unrolled: 1-line block ×3, first 2 shown]
	v_cmp_ge_i32_e32 vcc, v10, v11
	v_cndmask_b32_e32 v11, 0, v14, vcc
	v_min_i32_e32 v13, v10, v13
	v_lshlrev_b32_e32 v12, 2, v7
	v_cmp_lt_i32_e32 vcc, v11, v13
	s_waitcnt lgkmcnt(0)
	; wave barrier
	s_and_saveexec_b64 s[0:1], vcc
	s_cbranch_execz .LBB21_12
; %bb.9:
	v_lshlrev_b32_e32 v14, 2, v10
	v_lshl_add_u32 v14, v8, 2, v14
	s_mov_b64 s[2:3], 0
.LBB21_10:                              ; =>This Inner Loop Header: Depth=1
	v_sub_u32_e32 v15, v13, v11
	v_lshrrev_b32_e32 v15, 1, v15
	v_add_u32_e32 v15, v15, v11
	v_not_b32_e32 v17, v15
	v_lshl_add_u32 v16, v15, 2, v12
	v_lshl_add_u32 v17, v17, 2, v14
	ds_read_b32 v16, v16
	ds_read_b32 v17, v17
	v_add_u32_e32 v18, 1, v15
	s_waitcnt lgkmcnt(0)
	v_cmp_lt_u32_e32 vcc, v17, v16
	v_cndmask_b32_e32 v13, v13, v15, vcc
	v_cndmask_b32_e32 v11, v18, v11, vcc
	v_cmp_ge_i32_e32 vcc, v11, v13
	s_or_b64 s[2:3], vcc, s[2:3]
	s_andn2_b64 exec, exec, s[2:3]
	s_cbranch_execnz .LBB21_10
; %bb.11:
	s_or_b64 exec, exec, s[2:3]
.LBB21_12:
	s_or_b64 exec, exec, s[0:1]
	v_add_u32_e32 v10, v8, v10
	v_sub_u32_e32 v10, v10, v11
	v_lshl_add_u32 v12, v11, 2, v12
	v_lshlrev_b32_e32 v13, 2, v10
	ds_read_b32 v12, v12
	ds_read_b32 v13, v13
	v_add_u32_e32 v7, v11, v7
	v_cmp_le_i32_e64 s[0:1], v8, v7
	v_cmp_gt_i32_e32 vcc, v9, v10
	s_waitcnt lgkmcnt(0)
	v_cmp_lt_u32_e64 s[2:3], v13, v12
	s_or_b64 s[0:1], s[0:1], s[2:3]
	s_and_b64 vcc, vcc, s[0:1]
	v_cndmask_b32_e32 v7, v7, v10, vcc
	v_cndmask_b32_e32 v8, v12, v13, vcc
	; wave barrier
	ds_write_b32 v5, v6
	v_lshlrev_b32_e32 v6, 2, v7
	v_and_b32_e32 v7, 48, v0
	s_waitcnt lgkmcnt(0)
	; wave barrier
	ds_read_b32 v6, v6
	s_waitcnt lgkmcnt(0)
	; wave barrier
	ds_write_b32 v5, v8
	v_or_b32_e32 v8, 8, v7
	v_add_u32_e32 v9, 16, v7
	v_and_b32_e32 v10, 15, v0
	v_sub_u32_e32 v11, v9, v8
	v_sub_u32_e32 v13, v8, v7
	;; [unrolled: 1-line block ×3, first 2 shown]
	v_cmp_ge_i32_e32 vcc, v10, v11
	v_cndmask_b32_e32 v11, 0, v14, vcc
	v_min_i32_e32 v13, v10, v13
	v_lshlrev_b32_e32 v12, 2, v7
	v_cmp_lt_i32_e32 vcc, v11, v13
	s_waitcnt lgkmcnt(0)
	; wave barrier
	s_and_saveexec_b64 s[0:1], vcc
	s_cbranch_execz .LBB21_16
; %bb.13:
	v_lshlrev_b32_e32 v14, 2, v10
	v_lshl_add_u32 v14, v8, 2, v14
	s_mov_b64 s[2:3], 0
.LBB21_14:                              ; =>This Inner Loop Header: Depth=1
	v_sub_u32_e32 v15, v13, v11
	v_lshrrev_b32_e32 v15, 1, v15
	v_add_u32_e32 v15, v15, v11
	v_not_b32_e32 v17, v15
	v_lshl_add_u32 v16, v15, 2, v12
	v_lshl_add_u32 v17, v17, 2, v14
	ds_read_b32 v16, v16
	ds_read_b32 v17, v17
	v_add_u32_e32 v18, 1, v15
	s_waitcnt lgkmcnt(0)
	v_cmp_lt_u32_e32 vcc, v17, v16
	v_cndmask_b32_e32 v13, v13, v15, vcc
	v_cndmask_b32_e32 v11, v18, v11, vcc
	v_cmp_ge_i32_e32 vcc, v11, v13
	s_or_b64 s[2:3], vcc, s[2:3]
	s_andn2_b64 exec, exec, s[2:3]
	s_cbranch_execnz .LBB21_14
; %bb.15:
	s_or_b64 exec, exec, s[2:3]
.LBB21_16:
	s_or_b64 exec, exec, s[0:1]
	v_add_u32_e32 v10, v8, v10
	v_sub_u32_e32 v10, v10, v11
	v_lshl_add_u32 v12, v11, 2, v12
	v_lshlrev_b32_e32 v13, 2, v10
	ds_read_b32 v12, v12
	ds_read_b32 v13, v13
	v_add_u32_e32 v7, v11, v7
	v_cmp_le_i32_e64 s[0:1], v8, v7
	v_cmp_gt_i32_e32 vcc, v9, v10
	s_waitcnt lgkmcnt(0)
	v_cmp_lt_u32_e64 s[2:3], v13, v12
	s_or_b64 s[0:1], s[0:1], s[2:3]
	s_and_b64 vcc, vcc, s[0:1]
	v_cndmask_b32_e32 v7, v7, v10, vcc
	v_cndmask_b32_e32 v8, v12, v13, vcc
	; wave barrier
	ds_write_b32 v5, v6
	v_lshlrev_b32_e32 v6, 2, v7
	v_and_b32_e32 v7, 32, v0
	s_waitcnt lgkmcnt(0)
	; wave barrier
	ds_read_b32 v6, v6
	s_waitcnt lgkmcnt(0)
	; wave barrier
	ds_write_b32 v5, v8
	v_or_b32_e32 v8, 16, v7
	v_add_u32_e32 v9, 32, v7
	v_and_b32_e32 v10, 31, v0
	v_sub_u32_e32 v11, v9, v8
	v_sub_u32_e32 v13, v8, v7
	;; [unrolled: 1-line block ×3, first 2 shown]
	v_cmp_ge_i32_e32 vcc, v10, v11
	v_cndmask_b32_e32 v11, 0, v14, vcc
	v_min_i32_e32 v13, v10, v13
	v_lshlrev_b32_e32 v12, 2, v7
	v_cmp_lt_i32_e32 vcc, v11, v13
	s_waitcnt lgkmcnt(0)
	; wave barrier
	s_and_saveexec_b64 s[0:1], vcc
	s_cbranch_execz .LBB21_20
; %bb.17:
	v_lshlrev_b32_e32 v14, 2, v10
	v_lshl_add_u32 v14, v8, 2, v14
	s_mov_b64 s[2:3], 0
.LBB21_18:                              ; =>This Inner Loop Header: Depth=1
	v_sub_u32_e32 v15, v13, v11
	v_lshrrev_b32_e32 v15, 1, v15
	v_add_u32_e32 v15, v15, v11
	v_not_b32_e32 v17, v15
	v_lshl_add_u32 v16, v15, 2, v12
	v_lshl_add_u32 v17, v17, 2, v14
	ds_read_b32 v16, v16
	ds_read_b32 v17, v17
	v_add_u32_e32 v18, 1, v15
	s_waitcnt lgkmcnt(0)
	v_cmp_lt_u32_e32 vcc, v17, v16
	v_cndmask_b32_e32 v13, v13, v15, vcc
	v_cndmask_b32_e32 v11, v18, v11, vcc
	v_cmp_ge_i32_e32 vcc, v11, v13
	s_or_b64 s[2:3], vcc, s[2:3]
	s_andn2_b64 exec, exec, s[2:3]
	s_cbranch_execnz .LBB21_18
; %bb.19:
	s_or_b64 exec, exec, s[2:3]
.LBB21_20:
	s_or_b64 exec, exec, s[0:1]
	v_add_u32_e32 v10, v8, v10
	v_sub_u32_e32 v10, v10, v11
	v_lshl_add_u32 v12, v11, 2, v12
	v_lshlrev_b32_e32 v13, 2, v10
	ds_read_b32 v12, v12
	ds_read_b32 v13, v13
	v_add_u32_e32 v7, v11, v7
	v_cmp_le_i32_e64 s[0:1], v8, v7
	v_cmp_gt_i32_e32 vcc, v9, v10
	s_waitcnt lgkmcnt(0)
	v_cmp_lt_u32_e64 s[2:3], v13, v12
	s_or_b64 s[0:1], s[0:1], s[2:3]
	s_and_b64 vcc, vcc, s[0:1]
	v_cndmask_b32_e32 v7, v7, v10, vcc
	; wave barrier
	ds_write_b32 v5, v6
	v_lshlrev_b32_e32 v6, 2, v7
	s_waitcnt lgkmcnt(0)
	; wave barrier
	ds_read_b32 v6, v6
	v_cndmask_b32_e32 v8, v12, v13, vcc
	s_waitcnt lgkmcnt(0)
	; wave barrier
	ds_write_b32 v5, v8
	v_sub_u32_e64 v7, v0, 32 clamp
	v_min_i32_e32 v8, 32, v0
	v_cmp_lt_i32_e32 vcc, v7, v8
	s_waitcnt lgkmcnt(0)
	; wave barrier
	s_and_saveexec_b64 s[0:1], vcc
	s_cbranch_execz .LBB21_24
; %bb.21:
	v_lshl_add_u32 v9, 32, 2, v5
	s_mov_b64 s[2:3], 0
.LBB21_22:                              ; =>This Inner Loop Header: Depth=1
	v_sub_u32_e32 v10, v8, v7
	v_lshrrev_b32_e32 v10, 1, v10
	v_add_u32_e32 v10, v10, v7
	v_not_b32_e32 v12, v10
	v_lshlrev_b32_e32 v11, 2, v10
	v_lshl_add_u32 v12, v12, 2, v9
	ds_read_b32 v11, v11
	ds_read_b32 v12, v12
	v_add_u32_e32 v13, 1, v10
	s_waitcnt lgkmcnt(0)
	v_cmp_lt_u32_e32 vcc, v12, v11
	v_cndmask_b32_e32 v8, v8, v10, vcc
	v_cndmask_b32_e32 v7, v13, v7, vcc
	v_cmp_ge_i32_e32 vcc, v7, v8
	s_or_b64 s[2:3], vcc, s[2:3]
	s_andn2_b64 exec, exec, s[2:3]
	s_cbranch_execnz .LBB21_22
; %bb.23:
	s_or_b64 exec, exec, s[2:3]
.LBB21_24:
	s_or_b64 exec, exec, s[0:1]
	v_add_u32_e32 v0, 32, v0
	v_sub_u32_e32 v0, v0, v7
	v_lshlrev_b32_e32 v8, 2, v7
	v_lshlrev_b32_e32 v9, 2, v0
	ds_read_b32 v8, v8
	ds_read_b32 v9, v9
	v_cmp_le_i32_e32 vcc, 32, v7
	v_cmp_gt_i32_e64 s[0:1], 64, v0
	s_waitcnt lgkmcnt(0)
	; wave barrier
	v_cmp_lt_u32_e64 s[2:3], v9, v8
	s_or_b64 s[2:3], vcc, s[2:3]
	s_and_b64 vcc, s[0:1], s[2:3]
	v_cndmask_b32_e32 v0, v7, v0, vcc
	v_lshlrev_b32_e32 v0, 2, v0
	ds_write_b32 v5, v6
	s_waitcnt lgkmcnt(0)
	; wave barrier
	ds_read_b32 v0, v0
	v_cndmask_b32_e32 v8, v8, v9, vcc
	global_store_dword v[1:2], v8, off
	s_waitcnt lgkmcnt(0)
	global_store_dword v[3:4], v0, off
	s_endpgm
	.section	.rodata,"a",@progbits
	.p2align	6, 0x0
	.amdhsa_kernel _Z21sort_key_value_kernelILj64ELj1EjiN10test_utils4lessEEvPT1_PT2_T3_
		.amdhsa_group_segment_fixed_size 260
		.amdhsa_private_segment_fixed_size 0
		.amdhsa_kernarg_size 20
		.amdhsa_user_sgpr_count 6
		.amdhsa_user_sgpr_private_segment_buffer 1
		.amdhsa_user_sgpr_dispatch_ptr 0
		.amdhsa_user_sgpr_queue_ptr 0
		.amdhsa_user_sgpr_kernarg_segment_ptr 1
		.amdhsa_user_sgpr_dispatch_id 0
		.amdhsa_user_sgpr_flat_scratch_init 0
		.amdhsa_user_sgpr_private_segment_size 0
		.amdhsa_uses_dynamic_stack 0
		.amdhsa_system_sgpr_private_segment_wavefront_offset 0
		.amdhsa_system_sgpr_workgroup_id_x 1
		.amdhsa_system_sgpr_workgroup_id_y 0
		.amdhsa_system_sgpr_workgroup_id_z 0
		.amdhsa_system_sgpr_workgroup_info 0
		.amdhsa_system_vgpr_workitem_id 0
		.amdhsa_next_free_vgpr 19
		.amdhsa_next_free_sgpr 7
		.amdhsa_reserve_vcc 1
		.amdhsa_reserve_flat_scratch 0
		.amdhsa_float_round_mode_32 0
		.amdhsa_float_round_mode_16_64 0
		.amdhsa_float_denorm_mode_32 3
		.amdhsa_float_denorm_mode_16_64 3
		.amdhsa_dx10_clamp 1
		.amdhsa_ieee_mode 1
		.amdhsa_fp16_overflow 0
		.amdhsa_exception_fp_ieee_invalid_op 0
		.amdhsa_exception_fp_denorm_src 0
		.amdhsa_exception_fp_ieee_div_zero 0
		.amdhsa_exception_fp_ieee_overflow 0
		.amdhsa_exception_fp_ieee_underflow 0
		.amdhsa_exception_fp_ieee_inexact 0
		.amdhsa_exception_int_div_zero 0
	.end_amdhsa_kernel
	.section	.text._Z21sort_key_value_kernelILj64ELj1EjiN10test_utils4lessEEvPT1_PT2_T3_,"axG",@progbits,_Z21sort_key_value_kernelILj64ELj1EjiN10test_utils4lessEEvPT1_PT2_T3_,comdat
.Lfunc_end21:
	.size	_Z21sort_key_value_kernelILj64ELj1EjiN10test_utils4lessEEvPT1_PT2_T3_, .Lfunc_end21-_Z21sort_key_value_kernelILj64ELj1EjiN10test_utils4lessEEvPT1_PT2_T3_
                                        ; -- End function
	.set _Z21sort_key_value_kernelILj64ELj1EjiN10test_utils4lessEEvPT1_PT2_T3_.num_vgpr, 19
	.set _Z21sort_key_value_kernelILj64ELj1EjiN10test_utils4lessEEvPT1_PT2_T3_.num_agpr, 0
	.set _Z21sort_key_value_kernelILj64ELj1EjiN10test_utils4lessEEvPT1_PT2_T3_.numbered_sgpr, 7
	.set _Z21sort_key_value_kernelILj64ELj1EjiN10test_utils4lessEEvPT1_PT2_T3_.num_named_barrier, 0
	.set _Z21sort_key_value_kernelILj64ELj1EjiN10test_utils4lessEEvPT1_PT2_T3_.private_seg_size, 0
	.set _Z21sort_key_value_kernelILj64ELj1EjiN10test_utils4lessEEvPT1_PT2_T3_.uses_vcc, 1
	.set _Z21sort_key_value_kernelILj64ELj1EjiN10test_utils4lessEEvPT1_PT2_T3_.uses_flat_scratch, 0
	.set _Z21sort_key_value_kernelILj64ELj1EjiN10test_utils4lessEEvPT1_PT2_T3_.has_dyn_sized_stack, 0
	.set _Z21sort_key_value_kernelILj64ELj1EjiN10test_utils4lessEEvPT1_PT2_T3_.has_recursion, 0
	.set _Z21sort_key_value_kernelILj64ELj1EjiN10test_utils4lessEEvPT1_PT2_T3_.has_indirect_call, 0
	.section	.AMDGPU.csdata,"",@progbits
; Kernel info:
; codeLenInByte = 1760
; TotalNumSgprs: 11
; NumVgprs: 19
; ScratchSize: 0
; MemoryBound: 0
; FloatMode: 240
; IeeeMode: 1
; LDSByteSize: 260 bytes/workgroup (compile time only)
; SGPRBlocks: 1
; VGPRBlocks: 4
; NumSGPRsForWavesPerEU: 11
; NumVGPRsForWavesPerEU: 19
; Occupancy: 10
; WaveLimiterHint : 0
; COMPUTE_PGM_RSRC2:SCRATCH_EN: 0
; COMPUTE_PGM_RSRC2:USER_SGPR: 6
; COMPUTE_PGM_RSRC2:TRAP_HANDLER: 0
; COMPUTE_PGM_RSRC2:TGID_X_EN: 1
; COMPUTE_PGM_RSRC2:TGID_Y_EN: 0
; COMPUTE_PGM_RSRC2:TGID_Z_EN: 0
; COMPUTE_PGM_RSRC2:TIDIG_COMP_CNT: 0
	.section	.AMDGPU.gpr_maximums,"",@progbits
	.set amdgpu.max_num_vgpr, 0
	.set amdgpu.max_num_agpr, 0
	.set amdgpu.max_num_sgpr, 0
	.section	.AMDGPU.csdata,"",@progbits
	.type	__hip_cuid_7837f2b868e12a3e,@object ; @__hip_cuid_7837f2b868e12a3e
	.section	.bss,"aw",@nobits
	.globl	__hip_cuid_7837f2b868e12a3e
__hip_cuid_7837f2b868e12a3e:
	.byte	0                               ; 0x0
	.size	__hip_cuid_7837f2b868e12a3e, 1

	.ident	"AMD clang version 22.0.0git (https://github.com/RadeonOpenCompute/llvm-project roc-7.2.4 26084 f58b06dce1f9c15707c5f808fd002e18c2accf7e)"
	.section	".note.GNU-stack","",@progbits
	.addrsig
	.addrsig_sym __hip_cuid_7837f2b868e12a3e
	.amdgpu_metadata
---
amdhsa.kernels:
  - .args:
      - .address_space:  global
        .offset:         0
        .size:           8
        .value_kind:     global_buffer
      - .offset:         8
        .size:           1
        .value_kind:     by_value
    .group_segment_fixed_size: 1025
    .kernarg_segment_align: 8
    .kernarg_segment_size: 12
    .language:       OpenCL C
    .language_version:
      - 2
      - 0
    .max_flat_workgroup_size: 512
    .name:           _Z15sort_key_kernelILj512ELj2EhN10test_utils4lessEEvPT1_T2_
    .private_segment_fixed_size: 0
    .sgpr_count:     11
    .sgpr_spill_count: 0
    .symbol:         _Z15sort_key_kernelILj512ELj2EhN10test_utils4lessEEvPT1_T2_.kd
    .uniform_work_group_size: 1
    .uses_dynamic_stack: false
    .vgpr_count:     13
    .vgpr_spill_count: 0
    .wavefront_size: 64
  - .args:
      - .address_space:  global
        .offset:         0
        .size:           8
        .value_kind:     global_buffer
      - .offset:         8
        .size:           1
        .value_kind:     by_value
    .group_segment_fixed_size: 520
    .kernarg_segment_align: 8
    .kernarg_segment_size: 12
    .language:       OpenCL C
    .language_version:
      - 2
      - 0
    .max_flat_workgroup_size: 64
    .name:           _Z15sort_key_kernelILj64ELj1EyN10test_utils4lessEEvPT1_T2_
    .private_segment_fixed_size: 0
    .sgpr_count:     11
    .sgpr_spill_count: 0
    .symbol:         _Z15sort_key_kernelILj64ELj1EyN10test_utils4lessEEvPT1_T2_.kd
    .uniform_work_group_size: 1
    .uses_dynamic_stack: false
    .vgpr_count:     18
    .vgpr_spill_count: 0
    .wavefront_size: 64
  - .args:
      - .address_space:  global
        .offset:         0
        .size:           8
        .value_kind:     global_buffer
      - .offset:         8
        .size:           1
        .value_kind:     by_value
    .group_segment_fixed_size: 3586
    .kernarg_segment_align: 8
    .kernarg_segment_size: 12
    .language:       OpenCL C
    .language_version:
      - 2
      - 0
    .max_flat_workgroup_size: 256
    .name:           _Z15sort_key_kernelILj256ELj7EtN10test_utils4lessEEvPT1_T2_
    .private_segment_fixed_size: 0
    .sgpr_count:     18
    .sgpr_spill_count: 0
    .symbol:         _Z15sort_key_kernelILj256ELj7EtN10test_utils4lessEEvPT1_T2_.kd
    .uniform_work_group_size: 1
    .uses_dynamic_stack: false
    .vgpr_count:     23
    .vgpr_spill_count: 0
    .wavefront_size: 64
  - .args:
      - .address_space:  global
        .offset:         0
        .size:           8
        .value_kind:     global_buffer
      - .offset:         8
        .size:           1
        .value_kind:     by_value
    .group_segment_fixed_size: 2052
    .kernarg_segment_align: 8
    .kernarg_segment_size: 12
    .language:       OpenCL C
    .language_version:
      - 2
      - 0
    .max_flat_workgroup_size: 128
    .name:           _Z15sort_key_kernelILj128ELj4EiN10test_utils4lessEEvPT1_T2_
    .private_segment_fixed_size: 0
    .sgpr_count:     12
    .sgpr_spill_count: 0
    .symbol:         _Z15sort_key_kernelILj128ELj4EiN10test_utils4lessEEvPT1_T2_.kd
    .uniform_work_group_size: 1
    .uses_dynamic_stack: false
    .vgpr_count:     21
    .vgpr_spill_count: 0
    .wavefront_size: 64
  - .args:
      - .address_space:  global
        .offset:         0
        .size:           8
        .value_kind:     global_buffer
      - .offset:         8
        .size:           1
        .value_kind:     by_value
    .group_segment_fixed_size: 258
    .kernarg_segment_align: 8
    .kernarg_segment_size: 12
    .language:       OpenCL C
    .language_version:
      - 2
      - 0
    .max_flat_workgroup_size: 64
    .name:           _Z15sort_key_kernelILj64ELj2E12hip_bfloat16N10test_utils7greaterEEvPT1_T2_
    .private_segment_fixed_size: 0
    .sgpr_count:     11
    .sgpr_spill_count: 0
    .symbol:         _Z15sort_key_kernelILj64ELj2E12hip_bfloat16N10test_utils7greaterEEvPT1_T2_.kd
    .uniform_work_group_size: 1
    .uses_dynamic_stack: false
    .vgpr_count:     16
    .vgpr_spill_count: 0
    .wavefront_size: 64
  - .args:
      - .address_space:  global
        .offset:         0
        .size:           8
        .value_kind:     global_buffer
      - .offset:         8
        .size:           1
        .value_kind:     by_value
    .group_segment_fixed_size: 258
    .kernarg_segment_align: 8
    .kernarg_segment_size: 12
    .language:       OpenCL C
    .language_version:
      - 2
      - 0
    .max_flat_workgroup_size: 64
    .name:           _Z15sort_key_kernelILj64ELj2E6__halfN10test_utils7greaterEEvPT1_T2_
    .private_segment_fixed_size: 0
    .sgpr_count:     11
    .sgpr_spill_count: 0
    .symbol:         _Z15sort_key_kernelILj64ELj2E6__halfN10test_utils7greaterEEvPT1_T2_.kd
    .uniform_work_group_size: 1
    .uses_dynamic_stack: false
    .vgpr_count:     16
    .vgpr_spill_count: 0
    .wavefront_size: 64
  - .args:
      - .address_space:  global
        .offset:         0
        .size:           8
        .value_kind:     global_buffer
      - .offset:         8
        .size:           1
        .value_kind:     by_value
    .group_segment_fixed_size: 516
    .kernarg_segment_align: 8
    .kernarg_segment_size: 12
    .language:       OpenCL C
    .language_version:
      - 2
      - 0
    .max_flat_workgroup_size: 64
    .name:           _Z15sort_key_kernelILj64ELj2EfN10test_utils7greaterEEvPT1_T2_
    .private_segment_fixed_size: 0
    .sgpr_count:     11
    .sgpr_spill_count: 0
    .symbol:         _Z15sort_key_kernelILj64ELj2EfN10test_utils7greaterEEvPT1_T2_.kd
    .uniform_work_group_size: 1
    .uses_dynamic_stack: false
    .vgpr_count:     16
    .vgpr_spill_count: 0
    .wavefront_size: 64
  - .args:
      - .address_space:  global
        .offset:         0
        .size:           8
        .value_kind:     global_buffer
      - .offset:         8
        .size:           1
        .value_kind:     by_value
    .group_segment_fixed_size: 2050
    .kernarg_segment_align: 8
    .kernarg_segment_size: 12
    .language:       OpenCL C
    .language_version:
      - 2
      - 0
    .max_flat_workgroup_size: 1024
    .name:           _Z15sort_key_kernelILj1024ELj1EtN10test_utils7greaterEEvPT1_T2_
    .private_segment_fixed_size: 0
    .sgpr_count:     11
    .sgpr_spill_count: 0
    .symbol:         _Z15sort_key_kernelILj1024ELj1EtN10test_utils7greaterEEvPT1_T2_.kd
    .uniform_work_group_size: 1
    .uses_dynamic_stack: false
    .vgpr_count:     15
    .vgpr_spill_count: 0
    .wavefront_size: 64
  - .args:
      - .address_space:  global
        .offset:         0
        .size:           8
        .value_kind:     global_buffer
      - .offset:         8
        .size:           1
        .value_kind:     by_value
    .group_segment_fixed_size: 1028
    .kernarg_segment_align: 8
    .kernarg_segment_size: 12
    .language:       OpenCL C
    .language_version:
      - 2
      - 0
    .max_flat_workgroup_size: 256
    .name:           _Z15sort_key_kernelILj256ELj1EjN10test_utils4lessEEvPT1_T2_
    .private_segment_fixed_size: 0
    .sgpr_count:     11
    .sgpr_spill_count: 0
    .symbol:         _Z15sort_key_kernelILj256ELj1EjN10test_utils4lessEEvPT1_T2_.kd
    .uniform_work_group_size: 1
    .uses_dynamic_stack: false
    .vgpr_count:     16
    .vgpr_spill_count: 0
    .wavefront_size: 64
  - .args:
      - .address_space:  global
        .offset:         0
        .size:           8
        .value_kind:     global_buffer
      - .offset:         8
        .size:           1
        .value_kind:     by_value
    .group_segment_fixed_size: 516
    .kernarg_segment_align: 8
    .kernarg_segment_size: 12
    .language:       OpenCL C
    .language_version:
      - 2
      - 0
    .max_flat_workgroup_size: 128
    .name:           _Z15sort_key_kernelILj128ELj1EiN10test_utils4lessEEvPT1_T2_
    .private_segment_fixed_size: 0
    .sgpr_count:     11
    .sgpr_spill_count: 0
    .symbol:         _Z15sort_key_kernelILj128ELj1EiN10test_utils4lessEEvPT1_T2_.kd
    .uniform_work_group_size: 1
    .uses_dynamic_stack: false
    .vgpr_count:     16
    .vgpr_spill_count: 0
    .wavefront_size: 64
  - .args:
      - .address_space:  global
        .offset:         0
        .size:           8
        .value_kind:     global_buffer
      - .offset:         8
        .size:           1
        .value_kind:     by_value
    .group_segment_fixed_size: 260
    .kernarg_segment_align: 8
    .kernarg_segment_size: 12
    .language:       OpenCL C
    .language_version:
      - 2
      - 0
    .max_flat_workgroup_size: 64
    .name:           _Z15sort_key_kernelILj64ELj1EjN10test_utils4lessEEvPT1_T2_
    .private_segment_fixed_size: 0
    .sgpr_count:     11
    .sgpr_spill_count: 0
    .symbol:         _Z15sort_key_kernelILj64ELj1EjN10test_utils4lessEEvPT1_T2_.kd
    .uniform_work_group_size: 1
    .uses_dynamic_stack: false
    .vgpr_count:     16
    .vgpr_spill_count: 0
    .wavefront_size: 64
  - .args:
      - .address_space:  global
        .offset:         0
        .size:           8
        .value_kind:     global_buffer
      - .address_space:  global
        .offset:         8
        .size:           8
        .value_kind:     global_buffer
      - .offset:         16
        .size:           1
        .value_kind:     by_value
    .group_segment_fixed_size: 4100
    .kernarg_segment_align: 8
    .kernarg_segment_size: 20
    .language:       OpenCL C
    .language_version:
      - 2
      - 0
    .max_flat_workgroup_size: 512
    .name:           _Z21sort_key_value_kernelILj512ELj2EhiN10test_utils4lessEEvPT1_PT2_T3_
    .private_segment_fixed_size: 0
    .sgpr_count:     12
    .sgpr_spill_count: 0
    .symbol:         _Z21sort_key_value_kernelILj512ELj2EhiN10test_utils4lessEEvPT1_PT2_T3_.kd
    .uniform_work_group_size: 1
    .uses_dynamic_stack: false
    .vgpr_count:     18
    .vgpr_spill_count: 0
    .wavefront_size: 64
  - .args:
      - .address_space:  global
        .offset:         0
        .size:           8
        .value_kind:     global_buffer
      - .address_space:  global
        .offset:         8
        .size:           8
        .value_kind:     global_buffer
      - .offset:         16
        .size:           1
        .value_kind:     by_value
    .group_segment_fixed_size: 520
    .kernarg_segment_align: 8
    .kernarg_segment_size: 20
    .language:       OpenCL C
    .language_version:
      - 2
      - 0
    .max_flat_workgroup_size: 64
    .name:           _Z21sort_key_value_kernelILj64ELj1EycN10test_utils4lessEEvPT1_PT2_T3_
    .private_segment_fixed_size: 0
    .sgpr_count:     12
    .sgpr_spill_count: 0
    .symbol:         _Z21sort_key_value_kernelILj64ELj1EycN10test_utils4lessEEvPT1_PT2_T3_.kd
    .uniform_work_group_size: 1
    .uses_dynamic_stack: false
    .vgpr_count:     21
    .vgpr_spill_count: 0
    .wavefront_size: 64
  - .args:
      - .address_space:  global
        .offset:         0
        .size:           8
        .value_kind:     global_buffer
      - .address_space:  global
        .offset:         8
        .size:           8
        .value_kind:     global_buffer
      - .offset:         16
        .size:           1
        .value_kind:     by_value
    .group_segment_fixed_size: 3586
    .kernarg_segment_align: 8
    .kernarg_segment_size: 20
    .language:       OpenCL C
    .language_version:
      - 2
      - 0
    .max_flat_workgroup_size: 256
    .name:           _Z21sort_key_value_kernelILj256ELj7EtcN10test_utils4lessEEvPT1_PT2_T3_
    .private_segment_fixed_size: 0
    .sgpr_count:     62
    .sgpr_spill_count: 0
    .symbol:         _Z21sort_key_value_kernelILj256ELj7EtcN10test_utils4lessEEvPT1_PT2_T3_.kd
    .uniform_work_group_size: 1
    .uses_dynamic_stack: false
    .vgpr_count:     43
    .vgpr_spill_count: 0
    .wavefront_size: 64
  - .args:
      - .address_space:  global
        .offset:         0
        .size:           8
        .value_kind:     global_buffer
      - .address_space:  global
        .offset:         8
        .size:           8
        .value_kind:     global_buffer
      - .offset:         16
        .size:           1
        .value_kind:     by_value
    .group_segment_fixed_size: 2052
    .kernarg_segment_align: 8
    .kernarg_segment_size: 20
    .language:       OpenCL C
    .language_version:
      - 2
      - 0
    .max_flat_workgroup_size: 128
    .name:           _Z21sort_key_value_kernelILj128ELj4EisN10test_utils4lessEEvPT1_PT2_T3_
    .private_segment_fixed_size: 0
    .sgpr_count:     18
    .sgpr_spill_count: 0
    .symbol:         _Z21sort_key_value_kernelILj128ELj4EisN10test_utils4lessEEvPT1_PT2_T3_.kd
    .uniform_work_group_size: 1
    .uses_dynamic_stack: false
    .vgpr_count:     28
    .vgpr_spill_count: 0
    .wavefront_size: 64
  - .args:
      - .address_space:  global
        .offset:         0
        .size:           8
        .value_kind:     global_buffer
      - .address_space:  global
        .offset:         8
        .size:           8
        .value_kind:     global_buffer
      - .offset:         16
        .size:           1
        .value_kind:     by_value
    .group_segment_fixed_size: 258
    .kernarg_segment_align: 8
    .kernarg_segment_size: 20
    .language:       OpenCL C
    .language_version:
      - 2
      - 0
    .max_flat_workgroup_size: 64
    .name:           _Z21sort_key_value_kernelILj64ELj2E12hip_bfloat16S0_N10test_utils7greaterEEvPT1_PT2_T3_
    .private_segment_fixed_size: 0
    .sgpr_count:     11
    .sgpr_spill_count: 0
    .symbol:         _Z21sort_key_value_kernelILj64ELj2E12hip_bfloat16S0_N10test_utils7greaterEEvPT1_PT2_T3_.kd
    .uniform_work_group_size: 1
    .uses_dynamic_stack: false
    .vgpr_count:     20
    .vgpr_spill_count: 0
    .wavefront_size: 64
  - .args:
      - .address_space:  global
        .offset:         0
        .size:           8
        .value_kind:     global_buffer
      - .address_space:  global
        .offset:         8
        .size:           8
        .value_kind:     global_buffer
      - .offset:         16
        .size:           1
        .value_kind:     by_value
    .group_segment_fixed_size: 258
    .kernarg_segment_align: 8
    .kernarg_segment_size: 20
    .language:       OpenCL C
    .language_version:
      - 2
      - 0
    .max_flat_workgroup_size: 64
    .name:           _Z21sort_key_value_kernelILj64ELj2E6__halfS0_N10test_utils7greaterEEvPT1_PT2_T3_
    .private_segment_fixed_size: 0
    .sgpr_count:     11
    .sgpr_spill_count: 0
    .symbol:         _Z21sort_key_value_kernelILj64ELj2E6__halfS0_N10test_utils7greaterEEvPT1_PT2_T3_.kd
    .uniform_work_group_size: 1
    .uses_dynamic_stack: false
    .vgpr_count:     20
    .vgpr_spill_count: 0
    .wavefront_size: 64
  - .args:
      - .address_space:  global
        .offset:         0
        .size:           8
        .value_kind:     global_buffer
      - .address_space:  global
        .offset:         8
        .size:           8
        .value_kind:     global_buffer
      - .offset:         16
        .size:           1
        .value_kind:     by_value
    .group_segment_fixed_size: 516
    .kernarg_segment_align: 8
    .kernarg_segment_size: 20
    .language:       OpenCL C
    .language_version:
      - 2
      - 0
    .max_flat_workgroup_size: 64
    .name:           _Z21sort_key_value_kernelILj64ELj2EfcN10test_utils7greaterEEvPT1_PT2_T3_
    .private_segment_fixed_size: 0
    .sgpr_count:     12
    .sgpr_spill_count: 0
    .symbol:         _Z21sort_key_value_kernelILj64ELj2EfcN10test_utils7greaterEEvPT1_PT2_T3_.kd
    .uniform_work_group_size: 1
    .uses_dynamic_stack: false
    .vgpr_count:     21
    .vgpr_spill_count: 0
    .wavefront_size: 64
  - .args:
      - .address_space:  global
        .offset:         0
        .size:           8
        .value_kind:     global_buffer
      - .address_space:  global
        .offset:         8
        .size:           8
        .value_kind:     global_buffer
      - .offset:         16
        .size:           1
        .value_kind:     by_value
    .group_segment_fixed_size: 2050
    .kernarg_segment_align: 8
    .kernarg_segment_size: 20
    .language:       OpenCL C
    .language_version:
      - 2
      - 0
    .max_flat_workgroup_size: 1024
    .name:           _Z21sort_key_value_kernelILj1024ELj1EtcN10test_utils7greaterEEvPT1_PT2_T3_
    .private_segment_fixed_size: 0
    .sgpr_count:     12
    .sgpr_spill_count: 0
    .symbol:         _Z21sort_key_value_kernelILj1024ELj1EtcN10test_utils7greaterEEvPT1_PT2_T3_.kd
    .uniform_work_group_size: 1
    .uses_dynamic_stack: false
    .vgpr_count:     18
    .vgpr_spill_count: 0
    .wavefront_size: 64
  - .args:
      - .address_space:  global
        .offset:         0
        .size:           8
        .value_kind:     global_buffer
      - .address_space:  global
        .offset:         8
        .size:           8
        .value_kind:     global_buffer
      - .offset:         16
        .size:           1
        .value_kind:     by_value
    .group_segment_fixed_size: 1028
    .kernarg_segment_align: 8
    .kernarg_segment_size: 20
    .language:       OpenCL C
    .language_version:
      - 2
      - 0
    .max_flat_workgroup_size: 256
    .name:           _Z21sort_key_value_kernelILj256ELj1EjiN10test_utils4lessEEvPT1_PT2_T3_
    .private_segment_fixed_size: 0
    .sgpr_count:     11
    .sgpr_spill_count: 0
    .symbol:         _Z21sort_key_value_kernelILj256ELj1EjiN10test_utils4lessEEvPT1_PT2_T3_.kd
    .uniform_work_group_size: 1
    .uses_dynamic_stack: false
    .vgpr_count:     19
    .vgpr_spill_count: 0
    .wavefront_size: 64
  - .args:
      - .address_space:  global
        .offset:         0
        .size:           8
        .value_kind:     global_buffer
      - .address_space:  global
        .offset:         8
        .size:           8
        .value_kind:     global_buffer
      - .offset:         16
        .size:           1
        .value_kind:     by_value
    .group_segment_fixed_size: 516
    .kernarg_segment_align: 8
    .kernarg_segment_size: 20
    .language:       OpenCL C
    .language_version:
      - 2
      - 0
    .max_flat_workgroup_size: 128
    .name:           _Z21sort_key_value_kernelILj128ELj1EiiN10test_utils4lessEEvPT1_PT2_T3_
    .private_segment_fixed_size: 0
    .sgpr_count:     11
    .sgpr_spill_count: 0
    .symbol:         _Z21sort_key_value_kernelILj128ELj1EiiN10test_utils4lessEEvPT1_PT2_T3_.kd
    .uniform_work_group_size: 1
    .uses_dynamic_stack: false
    .vgpr_count:     19
    .vgpr_spill_count: 0
    .wavefront_size: 64
  - .args:
      - .address_space:  global
        .offset:         0
        .size:           8
        .value_kind:     global_buffer
      - .address_space:  global
        .offset:         8
        .size:           8
        .value_kind:     global_buffer
      - .offset:         16
        .size:           1
        .value_kind:     by_value
    .group_segment_fixed_size: 260
    .kernarg_segment_align: 8
    .kernarg_segment_size: 20
    .language:       OpenCL C
    .language_version:
      - 2
      - 0
    .max_flat_workgroup_size: 64
    .name:           _Z21sort_key_value_kernelILj64ELj1EjiN10test_utils4lessEEvPT1_PT2_T3_
    .private_segment_fixed_size: 0
    .sgpr_count:     11
    .sgpr_spill_count: 0
    .symbol:         _Z21sort_key_value_kernelILj64ELj1EjiN10test_utils4lessEEvPT1_PT2_T3_.kd
    .uniform_work_group_size: 1
    .uses_dynamic_stack: false
    .vgpr_count:     19
    .vgpr_spill_count: 0
    .wavefront_size: 64
amdhsa.target:   amdgcn-amd-amdhsa--gfx906
amdhsa.version:
  - 1
  - 2
...

	.end_amdgpu_metadata
